;; amdgpu-corpus repo=ROCm/hipBLASLt kind=harvested arch=n/a opt=n/a

/******************************************/
/* Begin Kernel                           */
/******************************************/
.amdgcn_target "amdgcn-amd-amdhsa--gfx942"
.text
.protected Custom_Cijk_Ailk_Bljk_F8NH_HSS_BH_Bias_GG_AS_SAB_SAV_UserArgs_shortname2_gfx942
.globl Custom_Cijk_Ailk_Bljk_F8NH_HSS_BH_Bias_GG_AS_SAB_SAV_UserArgs_shortname2_gfx942
.p2align 8
.type Custom_Cijk_Ailk_Bljk_F8NH_HSS_BH_Bias_GG_AS_SAB_SAV_UserArgs_shortname2_gfx942,@function
.section .rodata,#alloc
.p2align 6
.amdhsa_kernel Custom_Cijk_Ailk_Bljk_F8NH_HSS_BH_Bias_GG_AS_SAB_SAV_UserArgs_shortname2_gfx942
  .amdhsa_user_sgpr_kernarg_segment_ptr 1
  .amdhsa_accum_offset 128 // accvgpr offset
  .amdhsa_next_free_vgpr 256 // vgprs
  .amdhsa_next_free_sgpr 84 // sgprs
  .amdhsa_group_segment_fixed_size 32768 // lds bytes
  .amdhsa_private_segment_fixed_size 0
  .amdhsa_system_sgpr_workgroup_id_x 1
  .amdhsa_system_sgpr_workgroup_id_y 1
  .amdhsa_system_sgpr_workgroup_id_z 1
  .amdhsa_system_vgpr_workitem_id 0
  .amdhsa_float_denorm_mode_32 3
  .amdhsa_float_denorm_mode_16_64 3
  .amdhsa_user_sgpr_count 13
  .amdhsa_user_sgpr_kernarg_preload_length 11
  .amdhsa_user_sgpr_kernarg_preload_offset 0
.end_amdhsa_kernel
.text
/* Num VGPR   =112 */
/* Num AccVGPR=144 */
/* Num SGPR   =84 */

/******************************************/
/* Optimizations and Config:              */
/******************************************/
/* ThreadTile= 16 x 9 */
/* SubGroup= 16 x 16 */
/* VectorWidthA=4 */
/* VectorWidthB=1 */
/* GlobalReadVectorWidthA=4, GlobalReadVectorWidthB=2 */
/* DirectToLdsA=False */
/* DirectToLdsB=False */
/* UseSgprForGRO=1 */
.amdgpu_metadata
---
custom.config:
   ProblemType:
      OperationType: GEMM
      DataTypeA: f8n
      DataTypeB: h
      UseScaleAB: "Scalar"
      DataType: h
      DestDataType: s
      ComputeDataType: s
      HighPrecisionAccumulate: True
      TransposeA: False
      TransposeB: False
      UseBias: 1
      Activation: True
      UseScaleAlphaVec: 1
      UseBeta: True
      Batched: True
      GroupedGemm:   True
      SupportUserArgs: True
   EnableF32XdlMathOp: False
   EnableMatrixInstruction: True
   MFMA_BF16_1K: False
   MIBlock: [16, 16, 16, 1, 1, 1]
   MIInputPerThread: 4
   MIInputPerThreadA: 4
   MIInputPerThreadB: 4
   MIInputPerThreadMetadata: 4
   MIWaveGroup: [4, 1]
   MIWaveTile: [4, 9]
   MatrixInstB: 1
   MatrixInstBM: 1
   MatrixInstBN: 1
   MatrixInstK: 16
   MatrixInstM: 16
   MatrixInstN: 16
   MatrixInstruction: [16, 16, 16, 1]
   Sparse: 0
   ThreadTile: [1, 1]
   WavefrontSize: 64
   WorkGroup: [64, 4, 1]
   1LDSBuffer: 1
   ScheduleIterAlg: 3
   DepthU: 32
   StaggerU: 0
   WorkGroupMapping: 8
   WaveSeparateGlobalReadA: 1
   WaveSeparateGlobalReadB: 1
   GlobalReadVectorWidthA: 4
   GlobalReadVectorWidthB: 2
   AssertFree0ElementMultiple: 4
   AssertSummationElementMultiple: 1
   NoReject: 1
   InternalSupportParams:
      KernArgsVersion: 0
      SupportUserGSU: False
      SupportCustomWGM: False
      SupportCustomStaggerU: False
      UseUniversalArgs: False
amdhsa.version:
  - 1
  - 1
amdhsa.kernels:
  - .name: Custom_Cijk_Ailk_Bljk_F8NH_HSS_BH_Bias_GG_AS_SAB_SAV_UserArgs_shortname2_gfx942
    .symbol: 'Custom_Cijk_Ailk_Bljk_F8NH_HSS_BH_Bias_GG_AS_SAB_SAV_UserArgs_shortname2_gfx942.kd'
    .language:                   OpenCL C
    .language_version:
      - 2
      - 0
    .args:
      - .name:            SizesFree0
        .size:            4
        .offset:          0
        .value_kind:      by_value
        .value_type:      u32
      - .name:            SizesFree1
        .size:            4
        .offset:          4
        .value_kind:      by_value
        .value_type:      u32
      - .name:            SizesFree2
        .size:            4
        .offset:          8
        .value_kind:      by_value
        .value_type:      u32
      - .name:            SizesSum0
        .size:            4
        .offset:          12
        .value_kind:      by_value
        .value_type:      u32
      - .name:            D
        .size:            8
        .offset:          16
        .value_kind:      global_buffer
        .value_type:      f16
        .address_space:   generic
      - .name:            C
        .size:            8
        .offset:          24
        .value_kind:      global_buffer
        .value_type:      f16
        .address_space:   generic
      - .name:            A
        .size:            8
        .offset:          32
        .value_kind:      global_buffer
        .value_type:      f16
        .address_space:   generic
      - .name:            B
        .size:            8
        .offset:          40
        .value_kind:      global_buffer
        .value_type:      f16
        .address_space:   generic
      - .name:            strideD0
        .size:            4
        .offset:          48
        .value_kind:      by_value
        .value_type:      u32
      - .name:            strideD1
        .size:            4
        .offset:          52
        .value_kind:      by_value
        .value_type:      u32
      - .name:            strideC0
        .size:            4
        .offset:          56
        .value_kind:      by_value
        .value_type:      u32
      - .name:            strideC1
        .size:            4
        .offset:          60
        .value_kind:      by_value
        .value_type:      u32
      - .name:            strideA0
        .size:            4
        .offset:          64
        .value_kind:      by_value
        .value_type:      u32
      - .name:            strideA1
        .size:            4
        .offset:          68
        .value_kind:      by_value
        .value_type:      u32
      - .name:            strideB0
        .size:            4
        .offset:          72
        .value_kind:      by_value
        .value_type:      u32
      - .name:            strideB1
        .size:            4
        .offset:          76
        .value_kind:      by_value
        .value_type:      u32
      - .name:            alpha
        .size:            4
        .offset:          80
        .value_kind:      by_value
        .value_type:      f32
      - .name:            beta
        .size:            4
        .offset:          84
        .value_kind:      by_value
        .value_type:      f32
      - .name:            AddressScaleA
        .size:            8
        .offset:          88
        .value_kind:      global_buffer
        .value_type:      f32
        .address_space:   generic
      - .name:            AddressScaleB
        .size:            8
        .offset:          96
        .value_kind:      global_buffer
        .value_type:      f32
        .address_space:   generic
      - .name:            AddressScaleAlphaVec
        .size:            8
        .offset:          104
        .value_kind:      global_buffer
        .value_type:      f32
        .address_space:   generic
      - .name:            bias
        .size:            8
        .offset:          112
        .value_kind:      global_buffer
        .value_type:      void
        .address_space:   generic
      - .name:            biasType
        .size:            4
        .offset:          120
        .value_kind:      by_value
        .value_type:      u32
      - .name:            StrideBias
        .size:            4
        .offset:          124
        .value_kind:      by_value
        .value_type:      u32
      - .name:            activationAlpha
        .size:            4
        .offset:          128
        .value_kind:      by_value
        .value_type:      f32
      - .name:            activationBeta
        .size:            4
        .offset:          132
        .value_kind:      by_value
        .value_type:      f32
      - .name:            activationType
        .size:            4
        .offset:          136
        .value_kind:      by_value
        .value_type:      u32
    .group_segment_fixed_size:   26368
    .kernarg_segment_align:      8
    .kernarg_segment_size:       144
    .max_flat_workgroup_size:    256
    .private_segment_fixed_size: 0
    .sgpr_count:                 84
    .sgpr_spill_count:           0
    .vgpr_count:                 112
    .vgpr_spill_count:           0
    .wavefront_size:             64
...
.end_amdgpu_metadata
Custom_Cijk_Ailk_Bljk_F8NH_HSS_BH_Bias_GG_AS_SAB_SAV_UserArgs_shortname2_gfx942:
.long 0xC00206C0, 0x00000000
.long 0xC0020B80, 0x00000018
.long 0xC0060180, 0x00000004
.long 0xC0060000, 0x0000000C
.long 0xBF8CC07F
.long 0xBF82003D
	;; [unrolled: 1-line block ×63, first 2 shown]
.long 0xBEBC00FF, 0x05040100
.long 0xBEBD00FF, 0x07060302
	;; [unrolled: 1-line block ×3, first 2 shown]
.long 0x7E960300
.long 0xBE82000D
	;; [unrolled: 1-line block ×6, first 2 shown]
.long 0xBE9A00FF, 0x0000008C
.long 0x9216841B
.long 0xBE900100
.long 0xBF820004
.long 0xBE9A00FF, 0x000000C4
.long 0xBE960080
.long 0xBE900106
.long 0xBE980081
.long 0xBE970080
.long 0xC0080308, 0x00000016
.long 0xB41B0001
	;; [unrolled: 5-line block ×3, first 2 shown]
.long 0xBE930080
.long 0x92120DFF, 0x0000038E
.long 0x8E929012
.long 0x9215FF0D, 0x000038E4
.long 0x80121215
.long 0x82138013
	;; [unrolled: 1-line block ×3, first 2 shown]
.long 0x9213FF12, 0x00000090
.long 0xBF070D13
.long 0x82158012
	;; [unrolled: 1-line block ×9, first 2 shown]
.long 0xC0080308, 0x00000016
.long 0x80188118
.long 0xBF0A1B18
	;; [unrolled: 1-line block ×5, first 2 shown]
.long 0x86120CFF, 0x000000FF
.long 0x82148014
.long 0xBE930080
.long 0x92120DFF, 0x0000038E
.long 0x8E929012
.long 0x9215FF0D, 0x000038E4
.long 0x80121215
.long 0x82138013
	;; [unrolled: 1-line block ×3, first 2 shown]
.long 0x9213FF12, 0x00000090
.long 0xBF070D13
.long 0x82158012
.long 0x92141514
.long 0x92140E14
.long 0x92142E14
.long 0x80171417
.long 0x808B8118
.long 0x80881417
.long 0x80820802
.long 0xBF128006
.long 0xBF84000D
.long 0x9780001B
.long 0x82018001
.long 0x920BFF0B, 0x0000008C
.long 0x80000B00
.long 0x82018001
.long 0xC0120600, 0x00000000
.long 0xC00A0A00, 0x00000040
	;; [unrolled: 1-line block ×3, first 2 shown]
.long 0xBF82000C
.long 0x920BFF0B, 0x000000C4
.long 0x80060B06
.long 0x82078007
.long 0xC0120603, 0x00000000
.long 0xC00A0A03, 0x00000040
	;; [unrolled: 1-line block ×4, first 2 shown]
.long 0x260296BF
.long 0x2600028F
	;; [unrolled: 1-line block ×27, first 2 shown]
.long 0xBE8F00FF, 0x00000100
.long 0xD2850002, 0x0002040F
	;; [unrolled: 1-line block ×3, first 2 shown]
.long 0x20009688
.long 0xBE8F00FF, 0x00000090
.long 0xD2850000, 0x0002000F
	;; [unrolled: 1-line block ×3, first 2 shown]
.long 0x20049487
.long 0x24040483
	;; [unrolled: 1-line block ×21, first 2 shown]
.long 0x106808FF, 0x00000100
.long 0xD1FE0034, 0x02066900
.long 0x106A04A0
.long 0xD1FE0035, 0x02066B05
.long 0x200C6A87
.long 0x240C0C83
	;; [unrolled: 1-line block ×4, first 2 shown]
.long 0x7E1002FF, 0x00000100
.long 0x7E0E0218
.long 0x7E0C0D08
	;; [unrolled: 1-line block ×8, first 2 shown]
.long 0xD0CD006A, 0x00010109
.long 0xD11C6A06, 0x01A90106
	;; [unrolled: 1-line block ×3, first 2 shown]
.long 0x7E0E0219
.long 0x7E1A0506
	;; [unrolled: 1-line block ×9, first 2 shown]
.long 0xD0CD006A, 0x00010109
.long 0xD11C6A06, 0x01A90106
.long 0xBF800000
.long 0x7E1C0506
	;; [unrolled: 1-line block ×12, first 2 shown]
.long 0xD1080007, 0x00009D06
.long 0x6A0E0E02
.long 0xD0DA007E, 0x00009D07
.long 0x680C0C81
.long 0xBEFE01C1
.long 0x7E9C0506
.long 0xBE84004E
.long 0x924E0D0E
.long 0x924E044E
.long 0x924E2E4E
.long 0x80824E02
.long 0x7E0C0C0D
.long 0x7E0C4706
.long 0x7E0E0C02
.long 0x0A0C0F06
.long 0x7E0C0F06
.long 0xD1080007, 0x00001B06
.long 0x6A0E0E02
.long 0xD0DA007E, 0x00001B07
.long 0x680C0C81
.long 0xBEFE01C1
	;; [unrolled: 1-line block ×13, first 2 shown]
.long 0xD042006A, 0x0001002C
.long 0xBF860001
.long 0xBE9B0080
	;; [unrolled: 1-line block ×9, first 2 shown]
.long 0xD1080007, 0x00005D06
.long 0x6A0E0E03
.long 0xD0DA007E, 0x00005D07
.long 0x680C0C81
.long 0x7E0E0280
	;; [unrolled: 1-line block ×11, first 2 shown]
.long 0xBED200FF, 0x10000001
.long 0x964F5203
.long 0x924E5203
	;; [unrolled: 1-line block ×21, first 2 shown]
.long 0xD1080007, 0x0000A106
.long 0x6A0E0E4F
.long 0xD0DA007E, 0x0000A107
.long 0x680C0C81
.long 0x7E0E0280
	;; [unrolled: 1-line block ×16, first 2 shown]
.long 0xD2850001, 0x00020284
.long 0xD2850001, 0x00020228
.long 0x68000101
.long 0x20029686
	;; [unrolled: 1-line block ×4, first 2 shown]
.long 0xD1FE0036, 0x02020101
.long 0x686C6C84
.long 0x923E8128
	;; [unrolled: 1-line block ×8, first 2 shown]
.long 0xD2850006, 0x0002042A
.long 0x326E0D03
.long 0x686E6E82
	;; [unrolled: 1-line block ×19, first 2 shown]
.long 0x9651FF02, 0x00000100
.long 0x9250FF02, 0x00000100
.long 0x964F08A0
.long 0x924E08A0
	;; [unrolled: 1-line block ×30, first 2 shown]
.long 0xBEB300FF, 0x00020000
.long 0x9651FF03, 0x00000090
	;; [unrolled: 1-line block ×3, first 2 shown]
.long 0x96512A50
.long 0x92502A50
	;; [unrolled: 1-line block ×32, first 2 shown]
.long 0xBEB700FF, 0x00020000
.long 0x924DA02E
.long 0x920F284D
	;; [unrolled: 1-line block ×12, first 2 shown]
.long 0xD1080001, 0x00005D00
.long 0x6A02020B
.long 0xD0DA007E, 0x00005D01
.long 0x68000081
.long 0x7E020280
	;; [unrolled: 1-line block ×11, first 2 shown]
.long 0xE0501000, 0x800C3836
.long 0xE0501000, 0x3E0C3936
	;; [unrolled: 1-line block ×17, first 2 shown]
.long 0x80300F30
.long 0x82318031
.long 0x80B80F38
.long 0x82B98039
.long 0xBF068039
.long 0xBEB20238
.long 0x80342F34
.long 0x82358035
.long 0x80BA2F3A
.long 0x82BB803B
.long 0xBF06803B
.long 0xBEB6023A
.long 0xBE90001C
.long 0xBE91001D
.long 0xBE9200FF, 0x80000000
.long 0xBE9300FF, 0x00020000
.long 0xBE94001E
.long 0xBE95001F
.long 0xBE9600FF, 0x80000000
.long 0xBE9700FF, 0x00020000
	;; [unrolled: 1-line block ×3, first 2 shown]
.long 0x964F2650
.long 0x924E2650
	;; [unrolled: 1-line block ×39, first 2 shown]
.long 0xD3D94000, 0x18000080
.long 0xD3D94001, 0x18000080
	;; [unrolled: 1-line block ×128, first 2 shown]
.long 0x7EE00280
.long 0x7EE20280
	;; [unrolled: 1-line block ×19, first 2 shown]
.long 0x815084FF, 0x000010A4
.long 0x804E504E
.long 0x824F804F
	;; [unrolled: 1-line block ×12, first 2 shown]
.long 0xD81A0000, 0x00004035
.long 0xD81A0110, 0x00004135
	;; [unrolled: 1-line block ×9, first 2 shown]
.long 0xBF06810B
.long 0xBF850022
.long 0xE0501000, 0x800C3836
.long 0xE0501000, 0x3E0C3936
	;; [unrolled: 1-line block ×17, first 2 shown]
.long 0xBF8CC07F
.long 0xBF8A0000
.long 0x7EA8ACF9, 0x0004064C
.long 0x7E0014F9, 0x00061454
	;; [unrolled: 1-line block ×33, first 2 shown]
.long 0xBF06810B
.long 0xBF8502C8
.long 0xBF0B820B
.long 0xBF850175
.long 0xBF8CC07F
.long 0xD3CD8000, 0x04020110
.long 0xD8EC0020, 0x2200004A
.long 0x80300F30
.long 0xD3CD8004, 0x04120510
.long 0xD8EC0460, 0x2400004A
.long 0x82318031
	;; [unrolled: 3-line block ×9, first 2 shown]
.long 0xD3CD8024, 0x04920514
.long 0x82BB803B
.long 0xBF06803B
	;; [unrolled: 1-line block ×3, first 2 shown]
.long 0xD3CD8028, 0x04A20914
.long 0x7EA8ACF9, 0x00040650
	;; [unrolled: 1-line block ×16, first 2 shown]
.long 0xBF8CC07F
.long 0xBF8A0000
.long 0xD3CD8038, 0x04E20916
.long 0xBF8C4F70
.long 0x7E980338
.long 0x7EA8ACF9, 0x00040652
.long 0x7E1214F9, 0x00061454
	;; [unrolled: 1-line block ×9, first 2 shown]
.long 0xBF8C4F70
.long 0x7E9A0339
.long 0x7EA8ACF9, 0x00040653
.long 0x7E1214F9, 0x00061554
	;; [unrolled: 1-line block ×10, first 2 shown]
.long 0xBF8C4F70
.long 0x7E9C033A
.long 0xD3CD8050, 0x0542011A
.long 0xE0501000, 0x3F0C3A36
	;; [unrolled: 1-line block ×3, first 2 shown]
.long 0xBF8C4F70
.long 0x7E9E033B
.long 0xD3CD8058, 0x0562091A
.long 0xE0501000, 0x400C3B36
	;; [unrolled: 1-line block ×4, first 2 shown]
.long 0xBF8C4F70
.long 0x7EA0033C
.long 0xD3CD8064, 0x0592051C
.long 0xE0501000, 0x410C3C36
.long 0xD3CD8068, 0x05A2091C
.long 0xBF8C4F70
.long 0x7EA2033D
.long 0xD3CD806C, 0x05B20D1C
.long 0xE0501000, 0x420C3D36
	;; [unrolled: 1-line block ×4, first 2 shown]
.long 0xBF8C4F70
.long 0x7EA4033E
.long 0xD3CD8078, 0x05E2091E
.long 0xE0501000, 0x430C3E36
	;; [unrolled: 1-line block ×3, first 2 shown]
.long 0xBF8C4F70
.long 0x7EA6033F
.long 0xD3CD0070, 0x05C20120
.long 0xE0501000, 0x440C3F36
	;; [unrolled: 1-line block ×3, first 2 shown]
.long 0xBF8C4F70
.long 0xD81A0000, 0x00004035
.long 0xD3CD0078, 0x05E20920
	;; [unrolled: 1-line block ×4, first 2 shown]
.long 0xBF8C4F70
.long 0xD81A0110, 0x00004135
.long 0xD3CD8000, 0x04021122
	;; [unrolled: 1-line block ×5, first 2 shown]
.long 0xBF8C4F70
.long 0xD81A0220, 0x00004235
.long 0xD3CD800C, 0x04321D22
.long 0xE0501000, 0x460D4237
.long 0xD3CD8010, 0x04421124
.long 0xBF8C4F70
.long 0xD81A0330, 0x00004335
.long 0xD3CD8014, 0x04521524
.long 0xE0501000, 0x470D4337
.long 0xD3CD8018, 0x04621924
	;; [unrolled: 5-line block ×7, first 2 shown]
.long 0xD3CD8044, 0x0512152A
.long 0xD3CD8048, 0x0522192A
	;; [unrolled: 1-line block ×4, first 2 shown]
.long 0xBF8CC07F
.long 0xBF8A0000
.long 0xD3CD8054, 0x0552152C
.long 0xD8EC0000, 0x1000004A
	;; [unrolled: 1-line block ×48, first 2 shown]
.long 0x808B810B
.long 0xBF00820B
	;; [unrolled: 1-line block ×4, first 2 shown]
.long 0xD3CD8000, 0x04020110
.long 0xD8EC0020, 0x2200004A
.long 0x80300F30
.long 0xD3CD8004, 0x04120510
.long 0xD8EC0460, 0x2400004A
.long 0x82318031
	;; [unrolled: 3-line block ×9, first 2 shown]
.long 0xD3CD8024, 0x04920514
.long 0x82BB803B
.long 0xBF06803B
	;; [unrolled: 1-line block ×3, first 2 shown]
.long 0xD3CD8028, 0x04A20914
.long 0x7EA8ACF9, 0x00040650
	;; [unrolled: 1-line block ×33, first 2 shown]
.long 0xBF8CC07F
.long 0xBF8A0000
.long 0xD3CD804C, 0x05320D18
.long 0xBF8C4F70
.long 0x7E980338
.long 0xD3CD8050, 0x0542011A
	;; [unrolled: 3-line block ×3, first 2 shown]
.long 0xD3CD8058, 0x0562091A
.long 0xBF8C0F7E
.long 0x7E9C033A
.long 0xD3CD805C, 0x05720D1A
.long 0xD3CD8060, 0x0582011C
.long 0xBF8C0F7D
.long 0x7E9E033B
.long 0xD3CD8064, 0x0592051C
	;; [unrolled: 4-line block ×6, first 2 shown]
.long 0xD3CD0078, 0x05E20920
.long 0xBF8C0F78
.long 0xD81A0000, 0x00004035
.long 0xD3CD007C, 0x05F20D20
.long 0xBF8CC97F
.long 0xD3CD8000, 0x04021122
.long 0xBF8C0F77
.long 0xD81A0110, 0x00004135
.long 0xD3CD8004, 0x04121522
.long 0xD3CD8008, 0x04221922
.long 0xBF8C0F76
.long 0xD81A0220, 0x00004235
.long 0xD3CD800C, 0x04321D22
	;; [unrolled: 4-line block ×8, first 2 shown]
.long 0xD3CD8040, 0x0502112A
.long 0xD3CD8044, 0x0512152A
	;; [unrolled: 1-line block ×5, first 2 shown]
.long 0xBF8CC07F
.long 0xBF8A0000
.long 0xD3CD8054, 0x0552152C
.long 0xD8EC0000, 0x1000004A
	;; [unrolled: 1-line block ×48, first 2 shown]
.long 0xBF06812E
.long 0xBF840000
	;; [unrolled: 1-line block ×3, first 2 shown]
.long 0xD3CD8000, 0x04020110
.long 0xD8EC0020, 0x2200004A
.long 0xD3CD8004, 0x04120510
.long 0xD8EC0460, 0x2400004A
.long 0xD3CD8008, 0x04220910
.long 0xD8EC08A0, 0x2600004A
.long 0xD3CD800C, 0x04320D10
.long 0xD8EC0CE0, 0x2800004A
.long 0xD3CD8010, 0x04420112
.long 0xD8EC1120, 0x2A00004A
.long 0xD3CD8014, 0x04520512
.long 0xD8EC1560, 0x2C00004A
.long 0xD3CD8018, 0x04620912
.long 0xD8EC19A0, 0x2E00004A
.long 0xD3CD801C, 0x04720D12
.long 0xD8EC1DE0, 0x3000004A
.long 0xD3CD8020, 0x04820114
.long 0xD8EC2220, 0x3200004A
.long 0xD3CD8024, 0x04920514
.long 0x7EA8ACF9, 0x00040650
.long 0x7E1014F9, 0x00061454
.long 0x7E1414F9, 0x00061455
.long 0xD3CD8028, 0x04A20914
.long 0x7EA8ACF9, 0x00050650
.long 0x7E1814F9, 0x00061454
.long 0x7E1C14F9, 0x00061455
.long 0xD3CD802C, 0x04B20D14
.long 0x7EA8ACF9, 0x00040651
.long 0x7E1014F9, 0x00061554
.long 0x7E1414F9, 0x00061555
.long 0xD3CD8030, 0x04C20116
.long 0x7EA8ACF9, 0x00050651
.long 0x7E1814F9, 0x00061554
.long 0x7E1C14F9, 0x00061555
.long 0xD3CD8034, 0x04D20516
.long 0x7EA8ACF9, 0x00040652
.long 0x7E1214F9, 0x00061454
.long 0x7E1614F9, 0x00061455
.long 0xD3CD8038, 0x04E20916
.long 0x7EA8ACF9, 0x00050652
.long 0x7E1A14F9, 0x00061454
.long 0x7E1E14F9, 0x00061455
.long 0xD3CD803C, 0x04F20D16
.long 0x7EA8ACF9, 0x00040653
.long 0x7E1214F9, 0x00061554
.long 0x7E1614F9, 0x00061555
.long 0xD3CD8040, 0x05020118
.long 0x7EA8ACF9, 0x00050653
.long 0x7E1A14F9, 0x00061554
.long 0x7E1E14F9, 0x00061555
.long 0xD3CD8044, 0x05120518
.long 0xD3CD8048, 0x05220918
.long 0xD3CD804C, 0x05320D18
.long 0xD3CD8050, 0x0542011A
.long 0xD3CD8054, 0x0552051A
.long 0xD3CD8058, 0x0562091A
.long 0xD3CD805C, 0x05720D1A
.long 0xD3CD8060, 0x0582011C
.long 0xD3CD8064, 0x0592051C
.long 0xD3CD8068, 0x05A2091C
.long 0xD3CD806C, 0x05B20D1C
.long 0xD3CD8070, 0x05C2011E
.long 0xD3CD8074, 0x05D2051E
.long 0xD3CD8078, 0x05E2091E
.long 0xD3CD807C, 0x05F20D1E
.long 0xD3CD0070, 0x05C20120
.long 0xD3CD0074, 0x05D20520
.long 0xBF8CC07F
.long 0xBF8A0000
.long 0xD3CD0078, 0x05E20920
.long 0xD3CD007C, 0x05F20D20
.long 0xBF8CC07F
.long 0xD3CD8000, 0x04021122
.long 0xD3CD8004, 0x04121522
	;; [unrolled: 1-line block ×36, first 2 shown]
.long 0x860B1B9F
.long 0xBF070908
.long 0xBE8B0280
.long 0xBF06800B
.long 0xBE8C0080
.long 0xBF8501FA
.long 0xE0801000, 0x800C3836
.long 0xE0801001, 0x800C0036
.long 0xE0841002, 0x800C0136
.long 0xE0841003, 0x800C0236
.long 0xBF8C0F72
.long 0x24000088
.long 0x28700138
.long 0xBF8C0F71
.long 0x28700338
.long 0xBF8C0F70
.long 0x24040488
.long 0x28700538
.long 0xE0801000, 0x3E0C3936
.long 0xE0801001, 0x3E0C0036
.long 0xE0841002, 0x3E0C0136
.long 0xE0841003, 0x3E0C0236
.long 0xBF8C0F72
.long 0x24000088
	;; [unrolled: 12-line block ×8, first 2 shown]
.long 0x287E013F
.long 0xBF8C0F71
	;; [unrolled: 1-line block ×6, first 2 shown]
.long 0xE0901000, 0x800D4037
.long 0xE0941002, 0x800D0037
.long 0xBF8C0F70
.long 0x28800140
.long 0xE0901000, 0x450D4137
.long 0xE0941002, 0x450D0037
.long 0xBF8C0F70
.long 0x28820141
	;; [unrolled: 4-line block ×9, first 2 shown]
.long 0xBF8C0F70
.long 0xBF8A0000
.long 0x7E980338
.long 0x7E9A0339
.long 0x7E9C033A
.long 0x7E9E033B
.long 0x7EA0033C
.long 0x7EA2033D
.long 0x7EA4033E
.long 0x7EA6033F
.long 0xD81A0000, 0x00004035
.long 0xD81A0110, 0x00004135
	;; [unrolled: 1-line block ×9, first 2 shown]
.long 0xBF8CC07F
.long 0xBF8A0000
.long 0x7EA8ACF9, 0x0004064C
.long 0x7E0014F9, 0x00061454
	;; [unrolled: 1-line block ×24, first 2 shown]
.long 0x7E980350
.long 0x7E9A0351
	;; [unrolled: 1-line block ×4, first 2 shown]
.long 0xD8EC0000, 0x1000004A
.long 0xD8EC0440, 0x1200004A
	;; [unrolled: 1-line block ×10, first 2 shown]
.long 0x32929205
.long 0xBE8500A0
	;; [unrolled: 1-line block ×7, first 2 shown]
.long 0xD0C6004E, 0x0000173C
.long 0xD1000000, 0x01390100
	;; [unrolled: 1-line block ×27, first 2 shown]
.long 0x6A78780B
.long 0xD0C1004E, 0x0001093C
.long 0x8650830B
.long 0x80D05084
	;; [unrolled: 1-line block ×3, first 2 shown]
.long 0xD28F003E, 0x00020050
.long 0xD1000000, 0x013A7D00
	;; [unrolled: 1-line block ×39, first 2 shown]
.long 0xBF800001
.long 0xD3CD8000, 0x04020110
.long 0xD3CD8004, 0x04120510
	;; [unrolled: 1-line block ×36, first 2 shown]
.long 0x818B900B
.long 0x800C900C
	;; [unrolled: 1-line block ×8, first 2 shown]
.long 0xC00E0C00, 0x00000058
.long 0xC00A0E00, 0x00000078
	;; [unrolled: 1-line block ×3, first 2 shown]
.long 0xBF82000A
.long 0xC00A0C03, 0x00000070
.long 0xC00A0D03, 0x00000090
	;; [unrolled: 1-line block ×5, first 2 shown]
.long 0x20089686
.long 0x200A0882
.long 0xD2850005, 0x00020A90
.long 0x260296BF
.long 0x20020284
	;; [unrolled: 1-line block ×3, first 2 shown]
.long 0xD1FE0001, 0x02020305
.long 0xD2850002, 0x00004D01
	;; [unrolled: 1-line block ×3, first 2 shown]
.long 0x26000883
.long 0xD2850000, 0x00020090
.long 0x260A968F
.long 0xD1FE0000, 0x020A0105
.long 0x920502FF, 0x00000100
.long 0x68000005
.long 0x920503FF, 0x00000090
.long 0x68020205
.long 0xBF8CC07F
.long 0xBF06812E
.long 0xBF850574
.long 0x864818FF, 0x000000FF
.long 0x80490DC1
.long 0xBF094902
	;; [unrolled: 1-line block ×6, first 2 shown]
.long 0x924A19FF, 0x0000038E
.long 0x8ECA904A
.long 0x9249FF19, 0x000038E4
.long 0x804A4A49
.long 0x824B804B
.long 0x8FCAA14A
.long 0xBEC9004A
.long 0x924AFF49, 0x00000090
.long 0x80C84A19
.long 0x80490EC1
	;; [unrolled: 1-line block ×6, first 2 shown]
.long 0xD1FE0006, 0x020A0103
.long 0xD3D84008, 0x18000100
	;; [unrolled: 1-line block ×65, first 2 shown]
.long 0xBF800001
.long 0xE07C1000, 0x80040806
.long 0x8E3E8224
.long 0x80103E10
.long 0x82118011
.long 0xE07C1000, 0x80040C06
.long 0x8E3E8224
.long 0x80103E10
	;; [unrolled: 4-line block ×15, first 2 shown]
.long 0x82118011
.long 0xE07C1000, 0x80044406
.long 0xBF800000
.long 0xD3D84008, 0x18000140
.long 0xD3D84009, 0x18000144
	;; [unrolled: 1-line block ×64, first 2 shown]
.long 0xBF800001
.long 0x923EB424
.long 0x80103E10
.long 0x82118011
.long 0xE07C1000, 0x80040806
.long 0x8E3E8224
.long 0x80103E10
.long 0x82118011
.long 0xE07C1000, 0x80040C06
.long 0x8E3E8224
.long 0x80103E10
.long 0x82118011
	;; [unrolled: 4-line block ×16, first 2 shown]
.long 0x7E140378
.long 0x7E16037C
	;; [unrolled: 1-line block ×18, first 2 shown]
.long 0xE07C1000, 0x80040806
.long 0x8E3E8224
.long 0x80103E10
.long 0x82118011
.long 0xE07C1000, 0x80040C06
.long 0x8E3E8224
.long 0x80103E10
.long 0x82118011
	;; [unrolled: 4-line block ×3, first 2 shown]
.long 0xE07C1000, 0x80041406
.long 0xBF800000
.long 0xBF82038B
.long 0x7E9C02FF, 0x80000000
.long 0xD0C90048, 0x00003100
.long 0xD0C9004C, 0x00003301
.long 0x86CC4C48
.long 0xD1FE0006, 0x020A0103
.long 0xD1000006, 0x01320D4E
.long 0xD1196A01, 0x00010301
.long 0xD1340002, 0x00004D02
.long 0xD1340003, 0x00004903
.long 0xD0C90048, 0x00003100
.long 0xD0C9004C, 0x00003301
.long 0x86CC4C48
.long 0xD1FE0007, 0x020A0103
.long 0xD1000007, 0x01320F4E
.long 0xD1196A01, 0x00010301
.long 0xD1340002, 0x00004D02
.long 0xD1340003, 0x00004903
.long 0xD0C90048, 0x00003100
.long 0xD0C9004C, 0x00003301
.long 0x86CC4C48
.long 0xD1FE0010, 0x020A0103
.long 0xD1000010, 0x0132214E
.long 0xD1196A01, 0x00010301
.long 0xD1340002, 0x00004D02
.long 0xD1340003, 0x00004903
.long 0xD0C90048, 0x00003100
.long 0xD0C9004C, 0x00003301
.long 0x86CC4C48
.long 0xD1FE0011, 0x020A0103
.long 0xD1000011, 0x0132234E
.long 0xD1196A01, 0x00011B01
.long 0x92488D26
.long 0xD1340002, 0x00009102
.long 0x92488D24
.long 0xD1340003, 0x00009103
.long 0xD0C90048, 0x00003100
.long 0xD0C9004C, 0x00003301
.long 0x86CC4C48
.long 0xD1FE0012, 0x020A0103
.long 0xD1000012, 0x0132254E
.long 0xD1196A01, 0x00010301
.long 0xD1340002, 0x00004D02
.long 0xD1340003, 0x00004903
.long 0xD0C90048, 0x00003100
.long 0xD0C9004C, 0x00003301
.long 0x86CC4C48
.long 0xD1FE0013, 0x020A0103
.long 0xD1000013, 0x0132274E
.long 0xD1196A01, 0x00010301
.long 0xD1340002, 0x00004D02
.long 0xD1340003, 0x00004903
.long 0xD0C90048, 0x00003100
.long 0xD0C9004C, 0x00003301
.long 0x86CC4C48
.long 0xD1FE0024, 0x020A0103
.long 0xD1000024, 0x0132494E
.long 0xD1196A01, 0x00010301
.long 0xD1340002, 0x00004D02
.long 0xD1340003, 0x00004903
.long 0xD0C90048, 0x00003100
.long 0xD0C9004C, 0x00003301
.long 0x86CC4C48
.long 0xD1FE0025, 0x020A0103
.long 0xD1000025, 0x01324B4E
.long 0xD1196A01, 0x00011B01
.long 0x92488D26
.long 0xD1340002, 0x00009102
	;; [unrolled: 34-line block ×3, first 2 shown]
.long 0x92488D24
.long 0xD1340003, 0x00009103
.long 0xD0C90048, 0x00003100
.long 0xD0C9004C, 0x00003301
.long 0x86CC4C48
.long 0xD1FE003A, 0x020A0103
.long 0xD100003A, 0x0132754E
.long 0xD1196A01, 0x00010301
.long 0xD1340002, 0x00004D02
.long 0xD1340003, 0x00004903
.long 0xD0C90048, 0x00003100
.long 0xD0C9004C, 0x00003301
.long 0x86CC4C48
.long 0xD1FE003B, 0x020A0103
.long 0xD100003B, 0x0132774E
.long 0xD1196A01, 0x00010301
.long 0xD1340002, 0x00004D02
	;; [unrolled: 8-line block ×4, first 2 shown]
.long 0xD3D8400A, 0x18000108
.long 0xD3D8400B, 0x1800010C
	;; [unrolled: 1-line block ×62, first 2 shown]
.long 0xBF800001
.long 0xE07C1000, 0x80040806
.long 0xE07C1000, 0x80040C07
	;; [unrolled: 1-line block ×16, first 2 shown]
.long 0xBF800000
.long 0x7E9C02FF, 0x80000000
.long 0xD1196A01, 0x00011B01
.long 0x92488D26
.long 0xD1340002, 0x00009102
.long 0x92488D24
.long 0xD1340003, 0x00009103
.long 0xD0C90048, 0x00003100
.long 0xD0C9004C, 0x00003301
.long 0x86CC4C48
.long 0xD1FE0006, 0x020A0103
.long 0xD1000006, 0x01320D4E
.long 0xD1196A01, 0x00010301
.long 0xD1340002, 0x00004D02
.long 0xD1340003, 0x00004903
.long 0xD0C90048, 0x00003100
.long 0xD0C9004C, 0x00003301
.long 0x86CC4C48
.long 0xD1FE0007, 0x020A0103
.long 0xD1000007, 0x01320F4E
.long 0xD1196A01, 0x00010301
.long 0xD1340002, 0x00004D02
.long 0xD1340003, 0x00004903
.long 0xD0C90048, 0x00003100
.long 0xD0C9004C, 0x00003301
.long 0x86CC4C48
.long 0xD1FE0010, 0x020A0103
.long 0xD1000010, 0x0132214E
.long 0xD1196A01, 0x00010301
.long 0xD1340002, 0x00004D02
.long 0xD1340003, 0x00004903
.long 0xD0C90048, 0x00003100
.long 0xD0C9004C, 0x00003301
.long 0x86CC4C48
.long 0xD1FE0011, 0x020A0103
.long 0xD1000011, 0x0132234E
.long 0xD1196A01, 0x00011B01
.long 0x92488D26
.long 0xD1340002, 0x00009102
.long 0x92488D24
.long 0xD1340003, 0x00009103
.long 0xD0C90048, 0x00003100
.long 0xD0C9004C, 0x00003301
.long 0x86CC4C48
.long 0xD1FE0012, 0x020A0103
.long 0xD1000012, 0x0132254E
.long 0xD1196A01, 0x00010301
.long 0xD1340002, 0x00004D02
.long 0xD1340003, 0x00004903
.long 0xD0C90048, 0x00003100
.long 0xD0C9004C, 0x00003301
.long 0x86CC4C48
.long 0xD1FE0013, 0x020A0103
.long 0xD1000013, 0x0132274E
.long 0xD1196A01, 0x00010301
.long 0xD1340002, 0x00004D02
.long 0xD1340003, 0x00004903
.long 0xD0C90048, 0x00003100
.long 0xD0C9004C, 0x00003301
.long 0x86CC4C48
.long 0xD1FE0024, 0x020A0103
.long 0xD1000024, 0x0132494E
.long 0xD1196A01, 0x00010301
.long 0xD1340002, 0x00004D02
.long 0xD1340003, 0x00004903
.long 0xD0C90048, 0x00003100
.long 0xD0C9004C, 0x00003301
.long 0x86CC4C48
.long 0xD1FE0025, 0x020A0103
	;; [unrolled: 34-line block ×4, first 2 shown]
.long 0xD100004D, 0x01329B4E
.long 0xD3D84008, 0x18000140
	;; [unrolled: 1-line block ×65, first 2 shown]
.long 0xBF800001
.long 0xE07C1000, 0x80040806
.long 0xE07C1000, 0x80040C07
	;; [unrolled: 1-line block ×16, first 2 shown]
.long 0xBF800000
.long 0x7E2402FF, 0x80000000
.long 0xD1196A01, 0x00011B01
.long 0x92488D26
.long 0xD1340002, 0x00009102
.long 0x92488D24
.long 0xD1340003, 0x00009103
.long 0xD0C90048, 0x00003100
.long 0xD0C9004C, 0x00003301
.long 0x86CC4C48
.long 0xD1FE0006, 0x020A0103
.long 0xD1000006, 0x01320D12
.long 0xD1196A01, 0x00010301
.long 0xD1340002, 0x00004D02
.long 0xD1340003, 0x00004903
.long 0xD0C90048, 0x00003100
.long 0xD0C9004C, 0x00003301
.long 0x86CC4C48
.long 0xD1FE0007, 0x020A0103
.long 0xD1000007, 0x01320F12
.long 0xD1196A01, 0x00010301
.long 0xD1340002, 0x00004D02
	;; [unrolled: 8-line block ×3, first 2 shown]
.long 0xD1340003, 0x00004903
.long 0xD0C90048, 0x00003100
.long 0xD0C9004C, 0x00003301
.long 0x86CC4C48
.long 0xD1FE0011, 0x020A0103
.long 0xD1000011, 0x01322312
.long 0x7E100370
.long 0x7E120374
	;; [unrolled: 1-line block ×17, first 2 shown]
.long 0xE07C1000, 0x80040806
.long 0xE07C1000, 0x80040C07
	;; [unrolled: 1-line block ×4, first 2 shown]
.long 0xBF800000
.long 0xBF820000
	;; [unrolled: 1-line block ×3, first 2 shown]
.long 0x814A84FF, 0x00009040
.long 0x80484A48
.long 0x82498049
.long 0xBE801D48
.long 0xBE8500F2
.long 0xBF128030
.long 0xBF850002
.long 0xC0020158, 0x00000000
.long 0xBEAF00F2
.long 0xBF128032
	;; [unrolled: 1-line block ×3, first 2 shown]
.long 0xC0020BD9, 0x00000000
.long 0xBEC00034
.long 0xBEC10035
.long 0xBEC300FF, 0x00020000
.long 0xBF128034
.long 0xBF840002
	;; [unrolled: 1-line block ×12, first 2 shown]
.long 0xBEC700FF, 0x00020000
.long 0xBF128036
.long 0xBF840002
	;; [unrolled: 1-line block ×8, first 2 shown]
.long 0x923D02FF, 0x00000100
.long 0x6810963D
.long 0x923D0439
	;; [unrolled: 1-line block ×4, first 2 shown]
.long 0xE0501000, 0x80110408
.long 0x24109682
.long 0xBF8C0F70
.long 0xBF8A0000
.long 0xD81A0000, 0x00000408
.long 0xBF820012
.long 0xB4B80004
.long 0xBF850010
.long 0x92464682
.long 0x923D02FF, 0x00000100
.long 0x6810963D
.long 0x923D0439
.long 0x6810103D
.long 0x24101081
.long 0xE0901000, 0x80110408
.long 0x24109682
.long 0xBF8C0F70
.long 0xBF8A0000
.long 0x7E081704
.long 0xD81A0000, 0x00000408
.long 0xBF820000
.long 0x7E08022C
.long 0xBF8CC07F
.long 0xD1050004, 0x00000B04
.long 0xD1050004, 0x00005F04
.long 0xBF800000
.long 0x7E580504
	;; [unrolled: 1-line block ×19, first 2 shown]
.long 0x810584FF, 0x00008AA4
.long 0x803E053E
.long 0x823F803F
.long 0xBF820030
.long 0xBEBE1C00
.long 0x810584FF, 0x00008A90
.long 0x803E053E
.long 0x823F803F
.long 0xBF82002A
.long 0xBEBE1C00
	;; [unrolled: 5-line block ×9, first 2 shown]
.long 0xBF840F27
.long 0x864A18FF, 0x000000FF
.long 0x804B0DC1
.long 0xBF094B02
	;; [unrolled: 1-line block ×6, first 2 shown]
.long 0x924C19FF, 0x0000038E
.long 0x8ECC904C
.long 0x924BFF19, 0x000038E4
.long 0x804C4C4B
.long 0x824D804D
	;; [unrolled: 1-line block ×4, first 2 shown]
.long 0x924CFF4B, 0x00000090
.long 0x80CA4C19
.long 0x804B0EC1
.long 0xBF094B03
.long 0x854A804A
.long 0xB54A0000
.long 0xBF850623
.long 0x924A02FF, 0x00000100
.long 0xD135000B, 0x00009500
.long 0x24161682
.long 0xBF8CC07F
	;; [unrolled: 1-line block ×3, first 2 shown]
.long 0xD9FE0000, 0x1000000B
.long 0x24180082
.long 0xE05C1000, 0x8010140C
.long 0xD1FE0009, 0x020A0103
	;; [unrolled: 1-line block ×26, first 2 shown]
.long 0xBF800001
.long 0x0A30302C
	;; [unrolled: 1-line block ×26, first 2 shown]
.long 0xD0CC0034, 0x00010042
.long 0xD1000014, 0x00D228F2
	;; [unrolled: 1-line block ×10, first 2 shown]
.long 0xBEC81E3E
.long 0x7E300304
.long 0x7E320305
.long 0x7E340306
.long 0x7E360307
.long 0xE07C1000, 0x80041809
.long 0xD0CC0034, 0x00010042
.long 0xD1000014, 0x00D228F2
.long 0xD1000015, 0x00D22AF2
.long 0xD3B1401C, 0x18023914
.long 0xD0CC0034, 0x00010042
.long 0xD1000016, 0x00D22CF2
.long 0xD1000017, 0x00D22EF2
.long 0xD3B1401E, 0x18023D16
.long 0xD3B24004, 0x18023910
.long 0xD3B24006, 0x18023D12
.long 0xBEC81E3E
.long 0x7E380304
.long 0x7E3A0305
.long 0x7E3C0306
.long 0x7E3E0307
.long 0x8E4A8224
.long 0x80104A10
.long 0x82118011
.long 0xE07C1000, 0x80041C09
.long 0xD0CC0034, 0x00010042
.long 0xD1000014, 0x00D228F2
.long 0xD1000015, 0x00D22AF2
.long 0xD3B14020, 0x18024114
.long 0xD0CC0034, 0x00010042
.long 0xD1000016, 0x00D22CF2
.long 0xD1000017, 0x00D22EF2
.long 0xD3B14022, 0x18024516
.long 0xD3B24004, 0x18024110
.long 0xD3B24006, 0x18024512
.long 0xBEC81E3E
.long 0x7E400304
.long 0x7E420305
	;; [unrolled: 19-line block ×5, first 2 shown]
.long 0x7E5C0306
.long 0x7E5E0307
	;; [unrolled: 1-line block ×5, first 2 shown]
.long 0xE07C1000, 0x80042C09
.long 0xBF800000
.long 0x924A02FF, 0x00000100
.long 0xD135000B, 0x00009500
.long 0x24161682
.long 0xD9FE0000, 0x1000000B
.long 0xE05C1000, 0x8010140C
	;; [unrolled: 1-line block ×26, first 2 shown]
.long 0xBF800001
.long 0x0A30302C
	;; [unrolled: 1-line block ×26, first 2 shown]
.long 0xD0CC0034, 0x00010042
.long 0xD1000014, 0x00D228F2
.long 0xD1000015, 0x00D22AF2
.long 0xD3B14018, 0x18023114
.long 0xD0CC0034, 0x00010042
.long 0xD1000016, 0x00D22CF2
.long 0xD1000017, 0x00D22EF2
.long 0xD3B1401A, 0x18023516
.long 0xD3B24004, 0x18023110
.long 0xD3B24006, 0x18023512
.long 0xBEC81E3E
.long 0x7E300304
.long 0x7E320305
.long 0x7E340306
.long 0x7E360307
.long 0x8E4A8224
.long 0x80104A10
.long 0x82118011
.long 0xE07C1000, 0x80041809
.long 0xD0CC0034, 0x00010042
.long 0xD1000014, 0x00D228F2
.long 0xD1000015, 0x00D22AF2
.long 0xD3B1401C, 0x18023914
.long 0xD0CC0034, 0x00010042
.long 0xD1000016, 0x00D22CF2
.long 0xD1000017, 0x00D22EF2
.long 0xD3B1401E, 0x18023D16
.long 0xD3B24004, 0x18023910
.long 0xD3B24006, 0x18023D12
.long 0xBEC81E3E
.long 0x7E380304
.long 0x7E3A0305
.long 0x7E3C0306
.long 0x7E3E0307
.long 0x8E4A8224
.long 0x80104A10
.long 0x82118011
.long 0xE07C1000, 0x80041C09
	;; [unrolled: 19-line block ×6, first 2 shown]
.long 0xBF800000
.long 0x924A02FF, 0x00000100
.long 0xD135000B, 0x00009500
.long 0x24161682
.long 0xD9FE0000, 0x1000000B
.long 0xE05C1000, 0x8010140C
	;; [unrolled: 1-line block ×26, first 2 shown]
.long 0xBF800001
.long 0x0A30302C
.long 0x0A32322C
.long 0x0A34342C
.long 0x0A36362C
.long 0x0A38382C
.long 0x0A3A3A2C
.long 0x0A3C3C2C
.long 0x0A3E3E2C
.long 0x0A40402C
.long 0x0A42422C
.long 0x0A44442C
.long 0x0A46462C
.long 0x0A48482C
.long 0x0A4A4A2C
.long 0x0A4C4C2C
.long 0x0A4E4E2C
.long 0x0A50502C
.long 0x0A52522C
.long 0x0A54542C
.long 0x0A56562C
.long 0x0A58582C
.long 0x0A5A5A2C
.long 0x0A5C5C2C
.long 0x0A5E5E2C
.long 0xBF8C0000
.long 0xD0CC0034, 0x00010042
.long 0xD1000014, 0x00D228F2
.long 0xD1000015, 0x00D22AF2
.long 0xD3B14018, 0x18023114
.long 0xD0CC0034, 0x00010042
.long 0xD1000016, 0x00D22CF2
.long 0xD1000017, 0x00D22EF2
.long 0xD3B1401A, 0x18023516
.long 0xD3B24004, 0x18023110
.long 0xD3B24006, 0x18023512
.long 0xBEC81E3E
.long 0x7E300304
.long 0x7E320305
.long 0x7E340306
.long 0x7E360307
.long 0x924AB424
.long 0x80104A10
.long 0x82118011
.long 0xE07C1000, 0x80041809
.long 0xD0CC0034, 0x00010042
.long 0xD1000014, 0x00D228F2
.long 0xD1000015, 0x00D22AF2
.long 0xD3B1401C, 0x18023914
.long 0xD0CC0034, 0x00010042
.long 0xD1000016, 0x00D22CF2
.long 0xD1000017, 0x00D22EF2
.long 0xD3B1401E, 0x18023D16
.long 0xD3B24004, 0x18023910
.long 0xD3B24006, 0x18023D12
.long 0xBEC81E3E
.long 0x7E380304
.long 0x7E3A0305
.long 0x7E3C0306
.long 0x7E3E0307
.long 0x8E4A8224
.long 0x80104A10
.long 0x82118011
.long 0xE07C1000, 0x80041C09
.long 0xD0CC0034, 0x00010042
.long 0xD1000014, 0x00D228F2
.long 0xD1000015, 0x00D22AF2
.long 0xD3B14020, 0x18024114
.long 0xD0CC0034, 0x00010042
.long 0xD1000016, 0x00D22CF2
.long 0xD1000017, 0x00D22EF2
.long 0xD3B14022, 0x18024516
.long 0xD3B24004, 0x18024110
.long 0xD3B24006, 0x18024512
.long 0xBEC81E3E
.long 0x7E400304
.long 0x7E420305
.long 0x7E440306
.long 0x7E460307
.long 0x8E4A8224
.long 0x80104A10
.long 0x82118011
.long 0xE07C1000, 0x80042009
.long 0xD0CC0034, 0x00010042
.long 0xD1000014, 0x00D228F2
.long 0xD1000015, 0x00D22AF2
.long 0xD3B14024, 0x18024914
.long 0xD0CC0034, 0x00010042
.long 0xD1000016, 0x00D22CF2
.long 0xD1000017, 0x00D22EF2
.long 0xD3B14026, 0x18024D16
.long 0xD3B24004, 0x18024910
.long 0xD3B24006, 0x18024D12
.long 0xBEC81E3E
.long 0x7E480304
.long 0x7E4A0305
.long 0x7E4C0306
.long 0x7E4E0307
.long 0x8E4A8224
.long 0x80104A10
.long 0x82118011
.long 0xE07C1000, 0x80042409
.long 0xD0CC0034, 0x00010042
.long 0xD1000014, 0x00D228F2
.long 0xD1000015, 0x00D22AF2
.long 0xD3B14028, 0x18025114
.long 0xD0CC0034, 0x00010042
.long 0xD1000016, 0x00D22CF2
.long 0xD1000017, 0x00D22EF2
.long 0xD3B1402A, 0x18025516
.long 0xD3B24004, 0x18025110
.long 0xD3B24006, 0x18025512
.long 0xBEC81E3E
.long 0x7E500304
.long 0x7E520305
.long 0x7E540306
.long 0x7E560307
.long 0x924AB424
.long 0x80104A10
.long 0x82118011
.long 0xE07C1000, 0x80042809
.long 0xD0CC0034, 0x00010042
.long 0xD1000014, 0x00D228F2
.long 0xD1000015, 0x00D22AF2
.long 0xD3B1402C, 0x18025914
.long 0xD0CC0034, 0x00010042
.long 0xD1000016, 0x00D22CF2
.long 0xD1000017, 0x00D22EF2
.long 0xD3B1402E, 0x18025D16
.long 0xD3B24004, 0x18025910
.long 0xD3B24006, 0x18025D12
.long 0xBEC81E3E
.long 0x7E580304
.long 0x7E5A0305
.long 0x7E5C0306
.long 0x7E5E0307
.long 0x8E4A8224
.long 0x80104A10
.long 0x82118011
.long 0xE07C1000, 0x80042C09
.long 0xBF800000
.long 0x924A02FF, 0x00000100
.long 0xD135000B, 0x00009500
.long 0x24161682
.long 0xD9FE0000, 0x1000000B
.long 0xE05C1000, 0x8010140C
	;; [unrolled: 1-line block ×26, first 2 shown]
.long 0xBF800001
.long 0x0A30302C
	;; [unrolled: 1-line block ×26, first 2 shown]
.long 0xD0CC0034, 0x00010042
.long 0xD1000014, 0x00D228F2
.long 0xD1000015, 0x00D22AF2
.long 0xD3B14018, 0x18023114
.long 0xD0CC0034, 0x00010042
.long 0xD1000016, 0x00D22CF2
.long 0xD1000017, 0x00D22EF2
.long 0xD3B1401A, 0x18023516
.long 0xD3B24004, 0x18023110
.long 0xD3B24006, 0x18023512
.long 0xBEC81E3E
.long 0x7E300304
.long 0x7E320305
.long 0x7E340306
.long 0x7E360307
.long 0x8E4A8224
.long 0x80104A10
.long 0x82118011
.long 0xE07C1000, 0x80041809
.long 0xD0CC0034, 0x00010042
.long 0xD1000014, 0x00D228F2
.long 0xD1000015, 0x00D22AF2
.long 0xD3B1401C, 0x18023914
.long 0xD0CC0034, 0x00010042
.long 0xD1000016, 0x00D22CF2
.long 0xD1000017, 0x00D22EF2
.long 0xD3B1401E, 0x18023D16
.long 0xD3B24004, 0x18023910
.long 0xD3B24006, 0x18023D12
.long 0xBEC81E3E
.long 0x7E380304
.long 0x7E3A0305
.long 0x7E3C0306
.long 0x7E3E0307
.long 0x8E4A8224
.long 0x80104A10
.long 0x82118011
.long 0xE07C1000, 0x80041C09
	;; [unrolled: 19-line block ×6, first 2 shown]
.long 0xBF800000
.long 0x924A02FF, 0x00000100
.long 0xD135000B, 0x00009500
.long 0x24161682
.long 0xD9FE0000, 0x1000000B
.long 0xE05C1000, 0x8010140C
	;; [unrolled: 1-line block ×26, first 2 shown]
.long 0xBF800001
.long 0x0A30302C
	;; [unrolled: 1-line block ×26, first 2 shown]
.long 0xD0CC0034, 0x00010042
.long 0xD1000014, 0x00D228F2
.long 0xD1000015, 0x00D22AF2
.long 0xD3B14018, 0x18023114
.long 0xD0CC0034, 0x00010042
.long 0xD1000016, 0x00D22CF2
.long 0xD1000017, 0x00D22EF2
.long 0xD3B1401A, 0x18023516
.long 0xD3B24004, 0x18023110
.long 0xD3B24006, 0x18023512
.long 0xBEC81E3E
.long 0x7E300304
.long 0x7E320305
.long 0x7E340306
.long 0x7E360307
.long 0x924AB424
.long 0x80104A10
.long 0x82118011
.long 0xE07C1000, 0x80041809
.long 0xD0CC0034, 0x00010042
.long 0xD1000014, 0x00D228F2
.long 0xD1000015, 0x00D22AF2
.long 0xD3B1401C, 0x18023914
.long 0xD0CC0034, 0x00010042
.long 0xD1000016, 0x00D22CF2
.long 0xD1000017, 0x00D22EF2
.long 0xD3B1401E, 0x18023D16
.long 0xD3B24004, 0x18023910
.long 0xD3B24006, 0x18023D12
.long 0xBEC81E3E
.long 0x7E380304
.long 0x7E3A0305
.long 0x7E3C0306
.long 0x7E3E0307
.long 0x8E4A8224
.long 0x80104A10
.long 0x82118011
.long 0xE07C1000, 0x80041C09
	;; [unrolled: 19-line block ×6, first 2 shown]
.long 0xBF800000
.long 0x924A02FF, 0x00000100
.long 0xD135000B, 0x00009500
.long 0x24161682
.long 0xD9FE0000, 0x1000000B
.long 0xE05C1000, 0x8010140C
	;; [unrolled: 1-line block ×10, first 2 shown]
.long 0x7E400370
.long 0x7E420374
.long 0x7E440378
.long 0x7E46037C
.long 0x7E480371
.long 0x7E4A0375
.long 0x7E4C0379
.long 0x7E4E037D
.long 0x7E500372
.long 0x7E520376
.long 0x7E54037A
.long 0x7E56037E
.long 0x7E580373
.long 0x7E5A0377
.long 0x7E5C037B
.long 0x7E5E037F
.long 0xBF800001
.long 0x0A30302C
.long 0x0A32322C
.long 0x0A34342C
.long 0x0A36362C
.long 0x0A38382C
.long 0x0A3A3A2C
.long 0x0A3C3C2C
.long 0x0A3E3E2C
.long 0x0A40402C
.long 0x0A42422C
.long 0x0A44442C
.long 0x0A46462C
.long 0x0A48482C
.long 0x0A4A4A2C
.long 0x0A4C4C2C
.long 0x0A4E4E2C
.long 0x0A50502C
.long 0x0A52522C
.long 0x0A54542C
.long 0x0A56562C
.long 0x0A58582C
.long 0x0A5A5A2C
.long 0x0A5C5C2C
.long 0x0A5E5E2C
.long 0xBF8C0000
.long 0xD0CC0034, 0x00010042
.long 0xD1000014, 0x00D228F2
.long 0xD1000015, 0x00D22AF2
.long 0xD3B14018, 0x18023114
.long 0xD0CC0034, 0x00010042
.long 0xD1000016, 0x00D22CF2
.long 0xD1000017, 0x00D22EF2
.long 0xD3B1401A, 0x18023516
.long 0xD3B24004, 0x18023110
.long 0xD3B24006, 0x18023512
.long 0xBEC81E3E
.long 0x7E300304
.long 0x7E320305
.long 0x7E340306
.long 0x7E360307
.long 0x8E4A8224
.long 0x80104A10
.long 0x82118011
.long 0xE07C1000, 0x80041809
.long 0xD0CC0034, 0x00010042
.long 0xD1000014, 0x00D228F2
.long 0xD1000015, 0x00D22AF2
.long 0xD3B1401C, 0x18023914
.long 0xD0CC0034, 0x00010042
.long 0xD1000016, 0x00D22CF2
.long 0xD1000017, 0x00D22EF2
.long 0xD3B1401E, 0x18023D16
.long 0xD3B24004, 0x18023910
.long 0xD3B24006, 0x18023D12
.long 0xBEC81E3E
.long 0x7E380304
.long 0x7E3A0305
.long 0x7E3C0306
.long 0x7E3E0307
.long 0x8E4A8224
.long 0x80104A10
.long 0x82118011
.long 0xE07C1000, 0x80041C09
	;; [unrolled: 19-line block ×6, first 2 shown]
.long 0xBF800000
.long 0xBF821D3C
.long 0x7E6E02FF, 0x80000000
.long 0xD0C9004A, 0x00003100
	;; [unrolled: 1-line block ×3, first 2 shown]
.long 0x86CE4E4A
.long 0x924A02FF, 0x00000100
.long 0xD135000A, 0x00009500
.long 0x24141482
.long 0xD100000A, 0x013A1537
.long 0xBF8CC07F
.long 0xBF8A0000
.long 0xD9FE0000, 0x0C00000A
.long 0x24160082
.long 0xE05C1000, 0x8010100B
.long 0xD1FE0009, 0x020A0103
	;; [unrolled: 1-line block ×8, first 2 shown]
.long 0x86CE4E4A
.long 0x924A02FF, 0x00000100
.long 0xD1350019, 0x00009500
.long 0x24323282
.long 0xD1000019, 0x013A3337
.long 0x24340082
.long 0xD1FE0018, 0x020A0103
.long 0xD1000018, 0x013A3137
	;; [unrolled: 1-line block ×7, first 2 shown]
.long 0x86CE4E4A
.long 0x924A02FF, 0x00000100
.long 0xD1350020, 0x00009500
.long 0x24404082
.long 0xD1000020, 0x013A4137
.long 0x24420082
.long 0xD1FE001B, 0x020A0103
.long 0xD100001B, 0x013A3737
	;; [unrolled: 1-line block ×7, first 2 shown]
.long 0x86CE4E4A
.long 0x924A02FF, 0x00000100
.long 0xD1350023, 0x00009500
.long 0x24464682
.long 0xD1000023, 0x013A4737
.long 0x24500082
.long 0xD1FE0022, 0x020A0103
.long 0xD1000022, 0x013A4537
	;; [unrolled: 1-line block ×3, first 2 shown]
.long 0x924A8D26
.long 0xD1340002, 0x00009502
.long 0x924A8D24
.long 0xD1340003, 0x00009503
.long 0xD0C9004A, 0x00003100
	;; [unrolled: 1-line block ×3, first 2 shown]
.long 0x86CE4E4A
.long 0x924A02FF, 0x00000100
.long 0xD135002A, 0x00009500
.long 0x24545482
.long 0xD100002A, 0x013A5537
.long 0x24560082
.long 0xD1FE0029, 0x020A0103
.long 0xD1000029, 0x013A5337
	;; [unrolled: 1-line block ×7, first 2 shown]
.long 0x86CE4E4A
.long 0x924A02FF, 0x00000100
.long 0xD1350035, 0x00009500
.long 0x246A6A82
.long 0xD1000035, 0x013A6B37
.long 0x246C0082
.long 0xD1FE0034, 0x020A0103
.long 0xD1000034, 0x013A6937
	;; [unrolled: 1-line block ×26, first 2 shown]
.long 0xBF800001
.long 0x0A28282C
.long 0x0A2A2A2C
.long 0x0A2C2C2C
.long 0x0A2E2E2C
.long 0x0A38382C
.long 0x0A3A3A2C
.long 0x0A3C3C2C
.long 0x0A3E3E2C
.long 0x0A48482C
.long 0x0A4A4A2C
.long 0x0A4C4C2C
.long 0x0A4E4E2C
.long 0x0A58582C
.long 0x0A5A5A2C
.long 0x0A5C5C2C
.long 0x0A5E5E2C
.long 0x0A60602C
.long 0x0A62622C
.long 0x0A64642C
.long 0x0A66662C
.long 0x0A70702C
.long 0x0A72722C
.long 0x0A74742C
.long 0x0A76762C
.long 0xBF8C0000
.long 0xD0CC0034, 0x00010042
.long 0xD1000010, 0x00D220F2
.long 0xD1000011, 0x00D222F2
.long 0xD3B14014, 0x18022910
.long 0xD0CC0034, 0x00010042
.long 0xD1000012, 0x00D224F2
.long 0xD1000013, 0x00D226F2
.long 0xD3B14016, 0x18022D12
.long 0xD3B24004, 0x1802290C
.long 0xD3B24006, 0x18022D0E
.long 0xBEC81E3E
.long 0x7E280304
.long 0x7E2A0305
.long 0x7E2C0306
.long 0x7E2E0307
.long 0xE07C1000, 0x80041409
.long 0xD0CC0034, 0x00010042
.long 0xD1000010, 0x00D220F2
.long 0xD1000011, 0x00D222F2
.long 0xD3B1401C, 0x18023910
.long 0xD0CC0034, 0x00010042
.long 0xD1000012, 0x00D224F2
.long 0xD1000013, 0x00D226F2
.long 0xD3B1401E, 0x18023D12
.long 0xD3B24004, 0x1802390C
.long 0xD3B24006, 0x18023D0E
.long 0xBEC81E3E
.long 0x7E380304
.long 0x7E3A0305
.long 0x7E3C0306
.long 0x7E3E0307
.long 0xE07C1000, 0x80041C18
	;; [unrolled: 16-line block ×6, first 2 shown]
.long 0xBF800000
.long 0x7E6E02FF, 0x80000000
.long 0xD1196A01, 0x00010301
	;; [unrolled: 1-line block ×6, first 2 shown]
.long 0x86CE4E4A
.long 0x924A02FF, 0x00000100
.long 0xD135000A, 0x00009500
.long 0x24141482
.long 0xD100000A, 0x013A1537
.long 0xD9FE0000, 0x0C00000A
	;; [unrolled: 3-line block ×3, first 2 shown]
.long 0xD1000009, 0x013A1337
.long 0xD1196A01, 0x00010301
.long 0xD1340002, 0x00004D02
.long 0xD1340003, 0x00004903
.long 0xD0C9004A, 0x00003100
.long 0xD0C9004E, 0x00003301
.long 0x86CE4E4A
.long 0x924A02FF, 0x00000100
.long 0xD1350019, 0x00009500
.long 0x24323282
.long 0xD1000019, 0x013A3337
.long 0x24340082
.long 0xD1FE0018, 0x020A0103
.long 0xD1000018, 0x013A3137
	;; [unrolled: 1-line block ×3, first 2 shown]
.long 0x924A8D26
.long 0xD1340002, 0x00009502
.long 0x924A8D24
.long 0xD1340003, 0x00009503
.long 0xD0C9004A, 0x00003100
.long 0xD0C9004E, 0x00003301
.long 0x86CE4E4A
.long 0x924A02FF, 0x00000100
.long 0xD1350020, 0x00009500
.long 0x24404082
.long 0xD1000020, 0x013A4137
.long 0x24420082
.long 0xD1FE001B, 0x020A0103
.long 0xD100001B, 0x013A3737
.long 0xD1196A01, 0x00010301
.long 0xD1340002, 0x00004D02
.long 0xD1340003, 0x00004903
.long 0xD0C9004A, 0x00003100
.long 0xD0C9004E, 0x00003301
.long 0x86CE4E4A
.long 0x924A02FF, 0x00000100
.long 0xD1350023, 0x00009500
.long 0x24464682
.long 0xD1000023, 0x013A4737
.long 0x24500082
.long 0xD1FE0022, 0x020A0103
.long 0xD1000022, 0x013A4537
.long 0xD1196A01, 0x00010301
.long 0xD1340002, 0x00004D02
	;; [unrolled: 13-line block ×4, first 2 shown]
.long 0xD3D84016, 0x1800011A
.long 0xD3D84017, 0x1800011E
	;; [unrolled: 1-line block ×22, first 2 shown]
.long 0xBF800001
.long 0x0A28282C
	;; [unrolled: 1-line block ×26, first 2 shown]
.long 0xD0CC0034, 0x00010042
.long 0xD1000010, 0x00D220F2
.long 0xD1000011, 0x00D222F2
.long 0xD3B14014, 0x18022910
.long 0xD0CC0034, 0x00010042
.long 0xD1000012, 0x00D224F2
.long 0xD1000013, 0x00D226F2
.long 0xD3B14016, 0x18022D12
.long 0xD3B24004, 0x1802290C
.long 0xD3B24006, 0x18022D0E
.long 0xBEC81E3E
.long 0x7E280304
.long 0x7E2A0305
.long 0x7E2C0306
.long 0x7E2E0307
.long 0xE07C1000, 0x80041409
.long 0xD0CC0034, 0x00010042
.long 0xD1000010, 0x00D220F2
.long 0xD1000011, 0x00D222F2
.long 0xD3B1401C, 0x18023910
.long 0xD0CC0034, 0x00010042
.long 0xD1000012, 0x00D224F2
.long 0xD1000013, 0x00D226F2
.long 0xD3B1401E, 0x18023D12
.long 0xD3B24004, 0x1802390C
.long 0xD3B24006, 0x18023D0E
.long 0xBEC81E3E
.long 0x7E380304
.long 0x7E3A0305
.long 0x7E3C0306
.long 0x7E3E0307
.long 0xE07C1000, 0x80041C18
	;; [unrolled: 16-line block ×6, first 2 shown]
.long 0xBF800000
.long 0x7E6E02FF, 0x80000000
.long 0xD1196A01, 0x00011B01
.long 0x924A8D26
.long 0xD1340002, 0x00009502
.long 0x924A8D24
.long 0xD1340003, 0x00009503
.long 0xD0C9004A, 0x00003100
	;; [unrolled: 1-line block ×3, first 2 shown]
.long 0x86CE4E4A
.long 0x924A02FF, 0x00000100
.long 0xD135000A, 0x00009500
.long 0x24141482
.long 0xD100000A, 0x013A1537
.long 0xD9FE0000, 0x0C00000A
	;; [unrolled: 3-line block ×3, first 2 shown]
.long 0xD1000009, 0x013A1337
.long 0xD1196A01, 0x00010301
.long 0xD1340002, 0x00004D02
.long 0xD1340003, 0x00004903
.long 0xD0C9004A, 0x00003100
.long 0xD0C9004E, 0x00003301
.long 0x86CE4E4A
.long 0x924A02FF, 0x00000100
.long 0xD1350019, 0x00009500
.long 0x24323282
.long 0xD1000019, 0x013A3337
.long 0x24340082
.long 0xD1FE0018, 0x020A0103
.long 0xD1000018, 0x013A3137
.long 0xD1196A01, 0x00010301
.long 0xD1340002, 0x00004D02
.long 0xD1340003, 0x00004903
.long 0xD0C9004A, 0x00003100
.long 0xD0C9004E, 0x00003301
.long 0x86CE4E4A
.long 0x924A02FF, 0x00000100
.long 0xD1350020, 0x00009500
.long 0x24404082
.long 0xD1000020, 0x013A4137
.long 0x24420082
.long 0xD1FE001B, 0x020A0103
	;; [unrolled: 13-line block ×3, first 2 shown]
.long 0xD1000022, 0x013A4537
.long 0xD1196A01, 0x00011B01
.long 0x924A8D26
.long 0xD1340002, 0x00009502
.long 0x924A8D24
.long 0xD1340003, 0x00009503
.long 0xD0C9004A, 0x00003100
.long 0xD0C9004E, 0x00003301
.long 0x86CE4E4A
.long 0x924A02FF, 0x00000100
.long 0xD135002A, 0x00009500
.long 0x24545482
.long 0xD100002A, 0x013A5537
.long 0x24560082
.long 0xD1FE0029, 0x020A0103
.long 0xD1000029, 0x013A5337
	;; [unrolled: 1-line block ×7, first 2 shown]
.long 0x86CE4E4A
.long 0x924A02FF, 0x00000100
.long 0xD1350035, 0x00009500
.long 0x246A6A82
.long 0xD1000035, 0x013A6B37
.long 0x246C0082
.long 0xD1FE0034, 0x020A0103
.long 0xD1000034, 0x013A6937
	;; [unrolled: 1-line block ×26, first 2 shown]
.long 0xBF800001
.long 0x0A28282C
	;; [unrolled: 1-line block ×26, first 2 shown]
.long 0xD0CC0034, 0x00010042
.long 0xD1000010, 0x00D220F2
.long 0xD1000011, 0x00D222F2
.long 0xD3B14014, 0x18022910
.long 0xD0CC0034, 0x00010042
.long 0xD1000012, 0x00D224F2
.long 0xD1000013, 0x00D226F2
.long 0xD3B14016, 0x18022D12
.long 0xD3B24004, 0x1802290C
.long 0xD3B24006, 0x18022D0E
.long 0xBEC81E3E
.long 0x7E280304
.long 0x7E2A0305
.long 0x7E2C0306
.long 0x7E2E0307
.long 0xE07C1000, 0x80041409
.long 0xD0CC0034, 0x00010042
.long 0xD1000010, 0x00D220F2
.long 0xD1000011, 0x00D222F2
.long 0xD3B1401C, 0x18023910
.long 0xD0CC0034, 0x00010042
.long 0xD1000012, 0x00D224F2
.long 0xD1000013, 0x00D226F2
.long 0xD3B1401E, 0x18023D12
.long 0xD3B24004, 0x1802390C
.long 0xD3B24006, 0x18023D0E
.long 0xBEC81E3E
.long 0x7E380304
.long 0x7E3A0305
.long 0x7E3C0306
.long 0x7E3E0307
.long 0xE07C1000, 0x80041C18
	;; [unrolled: 16-line block ×6, first 2 shown]
.long 0xBF800000
.long 0x7E6E02FF, 0x80000000
.long 0xD1196A01, 0x00010301
	;; [unrolled: 1-line block ×6, first 2 shown]
.long 0x86CE4E4A
.long 0x924A02FF, 0x00000100
.long 0xD135000A, 0x00009500
.long 0x24141482
.long 0xD100000A, 0x013A1537
.long 0xD9FE0000, 0x0C00000A
	;; [unrolled: 3-line block ×3, first 2 shown]
.long 0xD1000009, 0x013A1337
.long 0xD1196A01, 0x00010301
	;; [unrolled: 1-line block ×6, first 2 shown]
.long 0x86CE4E4A
.long 0x924A02FF, 0x00000100
.long 0xD1350019, 0x00009500
.long 0x24323282
.long 0xD1000019, 0x013A3337
.long 0x24340082
.long 0xD1FE0018, 0x020A0103
.long 0xD1000018, 0x013A3137
	;; [unrolled: 1-line block ×3, first 2 shown]
.long 0x924A8D26
.long 0xD1340002, 0x00009502
.long 0x924A8D24
.long 0xD1340003, 0x00009503
.long 0xD0C9004A, 0x00003100
.long 0xD0C9004E, 0x00003301
.long 0x86CE4E4A
.long 0x924A02FF, 0x00000100
.long 0xD1350020, 0x00009500
.long 0x24404082
.long 0xD1000020, 0x013A4137
.long 0x24420082
.long 0xD1FE001B, 0x020A0103
.long 0xD100001B, 0x013A3737
.long 0xD1196A01, 0x00010301
.long 0xD1340002, 0x00004D02
.long 0xD1340003, 0x00004903
.long 0xD0C9004A, 0x00003100
.long 0xD0C9004E, 0x00003301
.long 0x86CE4E4A
.long 0x924A02FF, 0x00000100
.long 0xD1350023, 0x00009500
.long 0x24464682
.long 0xD1000023, 0x013A4737
.long 0x24500082
.long 0xD1FE0022, 0x020A0103
.long 0xD1000022, 0x013A4537
.long 0xD1196A01, 0x00010301
.long 0xD1340002, 0x00004D02
	;; [unrolled: 13-line block ×4, first 2 shown]
.long 0xD3D84016, 0x1800014A
.long 0xD3D84017, 0x1800014E
	;; [unrolled: 1-line block ×22, first 2 shown]
.long 0xBF800001
.long 0x0A28282C
	;; [unrolled: 1-line block ×26, first 2 shown]
.long 0xD0CC0034, 0x00010042
.long 0xD1000010, 0x00D220F2
.long 0xD1000011, 0x00D222F2
.long 0xD3B14014, 0x18022910
.long 0xD0CC0034, 0x00010042
.long 0xD1000012, 0x00D224F2
.long 0xD1000013, 0x00D226F2
.long 0xD3B14016, 0x18022D12
.long 0xD3B24004, 0x1802290C
.long 0xD3B24006, 0x18022D0E
.long 0xBEC81E3E
.long 0x7E280304
.long 0x7E2A0305
.long 0x7E2C0306
.long 0x7E2E0307
.long 0xE07C1000, 0x80041409
.long 0xD0CC0034, 0x00010042
.long 0xD1000010, 0x00D220F2
.long 0xD1000011, 0x00D222F2
.long 0xD3B1401C, 0x18023910
.long 0xD0CC0034, 0x00010042
.long 0xD1000012, 0x00D224F2
.long 0xD1000013, 0x00D226F2
.long 0xD3B1401E, 0x18023D12
.long 0xD3B24004, 0x1802390C
.long 0xD3B24006, 0x18023D0E
.long 0xBEC81E3E
.long 0x7E380304
.long 0x7E3A0305
.long 0x7E3C0306
.long 0x7E3E0307
.long 0xE07C1000, 0x80041C18
.long 0xD0CC0034, 0x00010042
.long 0xD1000010, 0x00D220F2
.long 0xD1000011, 0x00D222F2
.long 0xD3B14024, 0x18024910
.long 0xD0CC0034, 0x00010042
.long 0xD1000012, 0x00D224F2
.long 0xD1000013, 0x00D226F2
.long 0xD3B14026, 0x18024D12
.long 0xD3B24004, 0x1802490C
.long 0xD3B24006, 0x18024D0E
.long 0xBEC81E3E
.long 0x7E480304
.long 0x7E4A0305
.long 0x7E4C0306
.long 0x7E4E0307
.long 0xE07C1000, 0x8004241B
.long 0xD0CC0034, 0x00010042
.long 0xD1000010, 0x00D220F2
.long 0xD1000011, 0x00D222F2
.long 0xD3B1402C, 0x18025910
.long 0xD0CC0034, 0x00010042
.long 0xD1000012, 0x00D224F2
.long 0xD1000013, 0x00D226F2
.long 0xD3B1402E, 0x18025D12
.long 0xD3B24004, 0x1802590C
.long 0xD3B24006, 0x18025D0E
.long 0xBEC81E3E
.long 0x7E580304
.long 0x7E5A0305
.long 0x7E5C0306
.long 0x7E5E0307
.long 0xE07C1000, 0x80042C22
.long 0xD0CC0034, 0x00010042
.long 0xD1000010, 0x00D220F2
.long 0xD1000011, 0x00D222F2
.long 0xD3B14030, 0x18026110
.long 0xD0CC0034, 0x00010042
.long 0xD1000012, 0x00D224F2
.long 0xD1000013, 0x00D226F2
.long 0xD3B14032, 0x18026512
.long 0xD3B24004, 0x1802610C
.long 0xD3B24006, 0x1802650E
.long 0xBEC81E3E
.long 0x7E600304
.long 0x7E620305
.long 0x7E640306
.long 0x7E660307
.long 0xE07C1000, 0x80043029
.long 0xD0CC0034, 0x00010042
.long 0xD1000010, 0x00D220F2
.long 0xD1000011, 0x00D222F2
.long 0xD3B14038, 0x18027110
.long 0xD0CC0034, 0x00010042
.long 0xD1000012, 0x00D224F2
.long 0xD1000013, 0x00D226F2
.long 0xD3B1403A, 0x18027512
.long 0xD3B24004, 0x1802710C
.long 0xD3B24006, 0x1802750E
.long 0xBEC81E3E
.long 0x7E700304
.long 0x7E720305
.long 0x7E740306
.long 0x7E760307
.long 0xE07C1000, 0x80043834
.long 0xBF800000
.long 0x7E6E02FF, 0x80000000
.long 0xD1196A01, 0x00011B01
.long 0x924A8D26
.long 0xD1340002, 0x00009502
.long 0x924A8D24
.long 0xD1340003, 0x00009503
.long 0xD0C9004A, 0x00003100
	;; [unrolled: 1-line block ×3, first 2 shown]
.long 0x86CE4E4A
.long 0x924A02FF, 0x00000100
.long 0xD135000A, 0x00009500
.long 0x24141482
.long 0xD100000A, 0x013A1537
.long 0xD9FE0000, 0x0C00000A
	;; [unrolled: 3-line block ×3, first 2 shown]
.long 0xD1000009, 0x013A1337
.long 0xD1196A01, 0x00010301
.long 0xD1340002, 0x00004D02
.long 0xD1340003, 0x00004903
.long 0xD0C9004A, 0x00003100
.long 0xD0C9004E, 0x00003301
.long 0x86CE4E4A
.long 0x924A02FF, 0x00000100
.long 0xD1350019, 0x00009500
.long 0x24323282
.long 0xD1000019, 0x013A3337
.long 0x24340082
.long 0xD1FE0018, 0x020A0103
.long 0xD1000018, 0x013A3137
.long 0xD1196A01, 0x00010301
.long 0xD1340002, 0x00004D02
.long 0xD1340003, 0x00004903
.long 0xD0C9004A, 0x00003100
.long 0xD0C9004E, 0x00003301
.long 0x86CE4E4A
.long 0x924A02FF, 0x00000100
.long 0xD1350020, 0x00009500
.long 0x24404082
.long 0xD1000020, 0x013A4137
.long 0x24420082
.long 0xD1FE001B, 0x020A0103
	;; [unrolled: 13-line block ×3, first 2 shown]
.long 0xD1000022, 0x013A4537
.long 0xD1196A01, 0x00011B01
.long 0x924A8D26
.long 0xD1340002, 0x00009502
.long 0x924A8D24
.long 0xD1340003, 0x00009503
.long 0xD0C9004A, 0x00003100
	;; [unrolled: 1-line block ×3, first 2 shown]
.long 0x86CE4E4A
.long 0x924A02FF, 0x00000100
.long 0xD135002A, 0x00009500
.long 0x24545482
.long 0xD100002A, 0x013A5537
.long 0x24560082
.long 0xD1FE0029, 0x020A0103
.long 0xD1000029, 0x013A5337
	;; [unrolled: 1-line block ×7, first 2 shown]
.long 0x86CE4E4A
.long 0x924A02FF, 0x00000100
.long 0xD1350035, 0x00009500
.long 0x246A6A82
.long 0xD1000035, 0x013A6B37
.long 0x246C0082
.long 0xD1FE0034, 0x020A0103
.long 0xD1000034, 0x013A6937
	;; [unrolled: 1-line block ×26, first 2 shown]
.long 0xBF800001
.long 0x0A28282C
	;; [unrolled: 1-line block ×26, first 2 shown]
.long 0xD0CC0034, 0x00010042
.long 0xD1000010, 0x00D220F2
.long 0xD1000011, 0x00D222F2
.long 0xD3B14014, 0x18022910
.long 0xD0CC0034, 0x00010042
.long 0xD1000012, 0x00D224F2
.long 0xD1000013, 0x00D226F2
.long 0xD3B14016, 0x18022D12
.long 0xD3B24004, 0x1802290C
.long 0xD3B24006, 0x18022D0E
.long 0xBEC81E3E
.long 0x7E280304
.long 0x7E2A0305
.long 0x7E2C0306
.long 0x7E2E0307
.long 0xE07C1000, 0x80041409
.long 0xD0CC0034, 0x00010042
.long 0xD1000010, 0x00D220F2
.long 0xD1000011, 0x00D222F2
.long 0xD3B1401C, 0x18023910
.long 0xD0CC0034, 0x00010042
.long 0xD1000012, 0x00D224F2
.long 0xD1000013, 0x00D226F2
.long 0xD3B1401E, 0x18023D12
.long 0xD3B24004, 0x1802390C
.long 0xD3B24006, 0x18023D0E
.long 0xBEC81E3E
.long 0x7E380304
.long 0x7E3A0305
.long 0x7E3C0306
.long 0x7E3E0307
.long 0xE07C1000, 0x80041C18
	;; [unrolled: 16-line block ×6, first 2 shown]
.long 0xBF800000
.long 0x7E6E02FF, 0x80000000
.long 0xD1196A01, 0x00010301
	;; [unrolled: 1-line block ×6, first 2 shown]
.long 0x86CE4E4A
.long 0x924A02FF, 0x00000100
.long 0xD135000A, 0x00009500
.long 0x24141482
.long 0xD100000A, 0x013A1537
.long 0xD9FE0000, 0x0C00000A
	;; [unrolled: 3-line block ×3, first 2 shown]
.long 0xD1000009, 0x013A1337
.long 0xD1196A01, 0x00010301
	;; [unrolled: 1-line block ×6, first 2 shown]
.long 0x86CE4E4A
.long 0x924A02FF, 0x00000100
.long 0xD1350019, 0x00009500
.long 0x24323282
.long 0xD1000019, 0x013A3337
.long 0x24340082
.long 0xD1FE0018, 0x020A0103
.long 0xD1000018, 0x013A3137
	;; [unrolled: 1-line block ×3, first 2 shown]
.long 0x924A8D26
.long 0xD1340002, 0x00009502
.long 0x924A8D24
.long 0xD1340003, 0x00009503
.long 0xD0C9004A, 0x00003100
.long 0xD0C9004E, 0x00003301
.long 0x86CE4E4A
.long 0x924A02FF, 0x00000100
.long 0xD1350020, 0x00009500
.long 0x24404082
.long 0xD1000020, 0x013A4137
.long 0x24420082
.long 0xD1FE001B, 0x020A0103
.long 0xD100001B, 0x013A3737
.long 0xD1196A01, 0x00010301
.long 0xD1340002, 0x00004D02
.long 0xD1340003, 0x00004903
.long 0xD0C9004A, 0x00003100
.long 0xD0C9004E, 0x00003301
.long 0x86CE4E4A
.long 0x924A02FF, 0x00000100
.long 0xD1350023, 0x00009500
.long 0x24464682
.long 0xD1000023, 0x013A4737
.long 0x24500082
.long 0xD1FE0022, 0x020A0103
.long 0xD1000022, 0x013A4537
.long 0xD1196A01, 0x00010301
.long 0xD1340002, 0x00004D02
	;; [unrolled: 13-line block ×4, first 2 shown]
.long 0xD3D84016, 0x1800017A
.long 0xD3D84017, 0x1800017E
	;; [unrolled: 1-line block ×6, first 2 shown]
.long 0x7E480370
.long 0x7E4A0374
	;; [unrolled: 1-line block ×42, first 2 shown]
.long 0xD0CC0034, 0x00010042
.long 0xD1000010, 0x00D220F2
.long 0xD1000011, 0x00D222F2
.long 0xD3B14014, 0x18022910
.long 0xD0CC0034, 0x00010042
.long 0xD1000012, 0x00D224F2
.long 0xD1000013, 0x00D226F2
.long 0xD3B14016, 0x18022D12
.long 0xD3B24004, 0x1802290C
.long 0xD3B24006, 0x18022D0E
.long 0xBEC81E3E
.long 0x7E280304
.long 0x7E2A0305
.long 0x7E2C0306
.long 0x7E2E0307
.long 0xE07C1000, 0x80041409
.long 0xD0CC0034, 0x00010042
.long 0xD1000010, 0x00D220F2
.long 0xD1000011, 0x00D222F2
.long 0xD3B1401C, 0x18023910
.long 0xD0CC0034, 0x00010042
.long 0xD1000012, 0x00D224F2
.long 0xD1000013, 0x00D226F2
.long 0xD3B1401E, 0x18023D12
.long 0xD3B24004, 0x1802390C
.long 0xD3B24006, 0x18023D0E
.long 0xBEC81E3E
.long 0x7E380304
.long 0x7E3A0305
.long 0x7E3C0306
.long 0x7E3E0307
.long 0xE07C1000, 0x80041C18
	;; [unrolled: 16-line block ×6, first 2 shown]
.long 0xBF800000
.long 0xBF821451
.long 0x864A18FF, 0x000000FF
.long 0x804B0DC1
.long 0xBF094B02
	;; [unrolled: 1-line block ×6, first 2 shown]
.long 0x924C19FF, 0x0000038E
.long 0x8ECC904C
.long 0x924BFF19, 0x000038E4
.long 0x804C4C4B
.long 0x824D804D
	;; [unrolled: 1-line block ×4, first 2 shown]
.long 0x924CFF4B, 0x00000090
.long 0x80CA4C19
.long 0x804B0EC1
	;; [unrolled: 1-line block ×6, first 2 shown]
.long 0xD1FE000A, 0x020A0102
.long 0xE05C1000, 0x8005100A
	;; [unrolled: 1-line block ×4, first 2 shown]
.long 0x24161682
.long 0xBF8CC07F
	;; [unrolled: 1-line block ×3, first 2 shown]
.long 0xD9FE0000, 0x1400000B
.long 0x24180082
.long 0xE05C1000, 0x8010180C
.long 0x8E4A8226
.long 0x80144A14
.long 0x82158015
.long 0xE05C1000, 0x8005200A
.long 0x8E4A8226
.long 0x80144A14
.long 0x82158015
.long 0xE05C1000, 0x8005280A
.long 0x8E4A8226
.long 0x80144A14
.long 0x82158015
.long 0xE05C1000, 0x8005300A
.long 0xD1FE0009, 0x020A0103
	;; [unrolled: 1-line block ×18, first 2 shown]
.long 0xBF800001
.long 0x0A38382C
	;; [unrolled: 1-line block ×18, first 2 shown]
.long 0xD0CC0034, 0x00010042
.long 0xD1000018, 0x00D230F2
.long 0xD1000019, 0x00D232F2
.long 0xD3B1401C, 0x18023918
.long 0xD0CC0034, 0x00010042
.long 0xD100001A, 0x00D234F2
.long 0xD100001B, 0x00D236F2
.long 0xD3B1401E, 0x18023D1A
.long 0xD13B001C, 0x00005B10
.long 0xD13B001D, 0x00005B11
.long 0xD13B001E, 0x00005B12
.long 0xD13B001F, 0x00005B13
.long 0xD3B24004, 0x18023914
.long 0xD3B24006, 0x18023D16
.long 0xBEC81E3E
.long 0x7E380304
.long 0x7E3A0305
.long 0x7E3C0306
.long 0x7E3E0307
.long 0xE07C1000, 0x80041C09
.long 0xBF8C0F73
.long 0xD0CC0034, 0x00010042
.long 0xD1000018, 0x00D230F2
.long 0xD1000019, 0x00D232F2
.long 0xD3B14024, 0x18024918
.long 0xD0CC0034, 0x00010042
.long 0xD100001A, 0x00D234F2
.long 0xD100001B, 0x00D236F2
.long 0xD3B14026, 0x18024D1A
.long 0xD13B0024, 0x00005B20
.long 0xD13B0025, 0x00005B21
.long 0xD13B0026, 0x00005B22
.long 0xD13B0027, 0x00005B23
.long 0xD3B24004, 0x18024914
.long 0xD3B24006, 0x18024D16
.long 0xBEC81E3E
.long 0x7E480304
.long 0x7E4A0305
.long 0x7E4C0306
.long 0x7E4E0307
.long 0x8E4A8224
.long 0x80104A10
.long 0x82118011
.long 0xE07C1000, 0x80042409
.long 0xBF8C0F73
.long 0xD0CC0034, 0x00010042
.long 0xD1000018, 0x00D230F2
.long 0xD1000019, 0x00D232F2
.long 0xD3B1402C, 0x18025918
.long 0xD0CC0034, 0x00010042
.long 0xD100001A, 0x00D234F2
.long 0xD100001B, 0x00D236F2
.long 0xD3B1402E, 0x18025D1A
.long 0xD13B002C, 0x00005B28
.long 0xD13B002D, 0x00005B29
.long 0xD13B002E, 0x00005B2A
.long 0xD13B002F, 0x00005B2B
.long 0xD3B24004, 0x18025914
.long 0xD3B24006, 0x18025D16
.long 0xBEC81E3E
.long 0x7E580304
.long 0x7E5A0305
	;; [unrolled: 24-line block ×3, first 2 shown]
.long 0x7E6C0306
.long 0x7E6E0307
	;; [unrolled: 1-line block ×5, first 2 shown]
.long 0xE07C1000, 0x80043409
.long 0xBF800000
.long 0x924AB426
.long 0x80144A14
.long 0x82158015
.long 0xE05C1000, 0x8005100A
.long 0x924A02FF, 0x00000100
	;; [unrolled: 1-line block ×3, first 2 shown]
.long 0x24161682
.long 0xD9FE0000, 0x1400000B
.long 0xE05C1000, 0x8010180C
.long 0x8E4A8226
.long 0x80144A14
.long 0x82158015
.long 0xE05C1000, 0x8005200A
.long 0x8E4A8226
.long 0x80144A14
.long 0x82158015
	;; [unrolled: 4-line block ×3, first 2 shown]
.long 0xE05C1000, 0x8005300A
.long 0xD3D8401C, 0x18000110
	;; [unrolled: 1-line block ×17, first 2 shown]
.long 0xBF800001
.long 0x0A38382C
	;; [unrolled: 1-line block ×18, first 2 shown]
.long 0xD0CC0034, 0x00010042
.long 0xD1000018, 0x00D230F2
.long 0xD1000019, 0x00D232F2
.long 0xD3B1401C, 0x18023918
.long 0xD0CC0034, 0x00010042
.long 0xD100001A, 0x00D234F2
.long 0xD100001B, 0x00D236F2
.long 0xD3B1401E, 0x18023D1A
.long 0xD13B001C, 0x00005B10
.long 0xD13B001D, 0x00005B11
.long 0xD13B001E, 0x00005B12
.long 0xD13B001F, 0x00005B13
.long 0xD3B24004, 0x18023914
.long 0xD3B24006, 0x18023D16
.long 0xBEC81E3E
.long 0x7E380304
.long 0x7E3A0305
.long 0x7E3C0306
.long 0x7E3E0307
.long 0x924AB424
.long 0x80104A10
.long 0x82118011
.long 0xE07C1000, 0x80041C09
.long 0xBF8C0F73
.long 0xD0CC0034, 0x00010042
.long 0xD1000018, 0x00D230F2
.long 0xD1000019, 0x00D232F2
.long 0xD3B14024, 0x18024918
.long 0xD0CC0034, 0x00010042
.long 0xD100001A, 0x00D234F2
.long 0xD100001B, 0x00D236F2
.long 0xD3B14026, 0x18024D1A
.long 0xD13B0024, 0x00005B20
.long 0xD13B0025, 0x00005B21
.long 0xD13B0026, 0x00005B22
.long 0xD13B0027, 0x00005B23
.long 0xD3B24004, 0x18024914
.long 0xD3B24006, 0x18024D16
.long 0xBEC81E3E
.long 0x7E480304
.long 0x7E4A0305
.long 0x7E4C0306
.long 0x7E4E0307
.long 0x8E4A8224
.long 0x80104A10
.long 0x82118011
.long 0xE07C1000, 0x80042409
.long 0xBF8C0F73
	;; [unrolled: 24-line block ×4, first 2 shown]
.long 0x924AB426
.long 0x80144A14
	;; [unrolled: 1-line block ×3, first 2 shown]
.long 0xE05C1000, 0x8005100A
.long 0x924A02FF, 0x00000100
	;; [unrolled: 1-line block ×3, first 2 shown]
.long 0x24161682
.long 0xD9FE0000, 0x1400000B
.long 0xE05C1000, 0x8010180C
.long 0x8E4A8226
.long 0x80144A14
.long 0x82158015
.long 0xE05C1000, 0x8005200A
.long 0x8E4A8226
.long 0x80144A14
.long 0x82158015
	;; [unrolled: 4-line block ×3, first 2 shown]
.long 0xE05C1000, 0x8005300A
.long 0xD3D8401C, 0x18000120
	;; [unrolled: 1-line block ×17, first 2 shown]
.long 0xBF800001
.long 0x0A38382C
	;; [unrolled: 1-line block ×18, first 2 shown]
.long 0xD0CC0034, 0x00010042
.long 0xD1000018, 0x00D230F2
.long 0xD1000019, 0x00D232F2
.long 0xD3B1401C, 0x18023918
.long 0xD0CC0034, 0x00010042
.long 0xD100001A, 0x00D234F2
.long 0xD100001B, 0x00D236F2
.long 0xD3B1401E, 0x18023D1A
.long 0xD13B001C, 0x00005B10
.long 0xD13B001D, 0x00005B11
.long 0xD13B001E, 0x00005B12
.long 0xD13B001F, 0x00005B13
.long 0xD3B24004, 0x18023914
.long 0xD3B24006, 0x18023D16
.long 0xBEC81E3E
.long 0x7E380304
.long 0x7E3A0305
.long 0x7E3C0306
.long 0x7E3E0307
.long 0x924AB424
.long 0x80104A10
.long 0x82118011
.long 0xE07C1000, 0x80041C09
.long 0xBF8C0F73
.long 0xD0CC0034, 0x00010042
.long 0xD1000018, 0x00D230F2
.long 0xD1000019, 0x00D232F2
.long 0xD3B14024, 0x18024918
.long 0xD0CC0034, 0x00010042
.long 0xD100001A, 0x00D234F2
.long 0xD100001B, 0x00D236F2
.long 0xD3B14026, 0x18024D1A
.long 0xD13B0024, 0x00005B20
.long 0xD13B0025, 0x00005B21
.long 0xD13B0026, 0x00005B22
.long 0xD13B0027, 0x00005B23
.long 0xD3B24004, 0x18024914
.long 0xD3B24006, 0x18024D16
.long 0xBEC81E3E
.long 0x7E480304
.long 0x7E4A0305
.long 0x7E4C0306
.long 0x7E4E0307
.long 0x8E4A8224
.long 0x80104A10
.long 0x82118011
.long 0xE07C1000, 0x80042409
.long 0xBF8C0F73
	;; [unrolled: 24-line block ×4, first 2 shown]
.long 0x924AB426
.long 0x80144A14
	;; [unrolled: 1-line block ×3, first 2 shown]
.long 0xE05C1000, 0x8005100A
.long 0x924A02FF, 0x00000100
	;; [unrolled: 1-line block ×3, first 2 shown]
.long 0x24161682
.long 0xD9FE0000, 0x1400000B
.long 0xE05C1000, 0x8010180C
.long 0x8E4A8226
.long 0x80144A14
.long 0x82158015
.long 0xE05C1000, 0x8005200A
.long 0x8E4A8226
.long 0x80144A14
.long 0x82158015
	;; [unrolled: 4-line block ×3, first 2 shown]
.long 0xE05C1000, 0x8005300A
.long 0xD3D8401C, 0x18000130
	;; [unrolled: 1-line block ×17, first 2 shown]
.long 0xBF800001
.long 0x0A38382C
	;; [unrolled: 1-line block ×18, first 2 shown]
.long 0xD0CC0034, 0x00010042
.long 0xD1000018, 0x00D230F2
.long 0xD1000019, 0x00D232F2
.long 0xD3B1401C, 0x18023918
.long 0xD0CC0034, 0x00010042
.long 0xD100001A, 0x00D234F2
.long 0xD100001B, 0x00D236F2
.long 0xD3B1401E, 0x18023D1A
.long 0xD13B001C, 0x00005B10
.long 0xD13B001D, 0x00005B11
.long 0xD13B001E, 0x00005B12
.long 0xD13B001F, 0x00005B13
.long 0xD3B24004, 0x18023914
.long 0xD3B24006, 0x18023D16
.long 0xBEC81E3E
.long 0x7E380304
.long 0x7E3A0305
.long 0x7E3C0306
.long 0x7E3E0307
.long 0x924AB424
.long 0x80104A10
.long 0x82118011
.long 0xE07C1000, 0x80041C09
.long 0xBF8C0F73
.long 0xD0CC0034, 0x00010042
.long 0xD1000018, 0x00D230F2
.long 0xD1000019, 0x00D232F2
.long 0xD3B14024, 0x18024918
.long 0xD0CC0034, 0x00010042
.long 0xD100001A, 0x00D234F2
.long 0xD100001B, 0x00D236F2
.long 0xD3B14026, 0x18024D1A
.long 0xD13B0024, 0x00005B20
.long 0xD13B0025, 0x00005B21
.long 0xD13B0026, 0x00005B22
.long 0xD13B0027, 0x00005B23
.long 0xD3B24004, 0x18024914
.long 0xD3B24006, 0x18024D16
.long 0xBEC81E3E
.long 0x7E480304
.long 0x7E4A0305
.long 0x7E4C0306
.long 0x7E4E0307
.long 0x8E4A8224
.long 0x80104A10
.long 0x82118011
.long 0xE07C1000, 0x80042409
.long 0xBF8C0F73
	;; [unrolled: 24-line block ×4, first 2 shown]
.long 0x924AB426
.long 0x80144A14
.long 0x82158015
.long 0xE05C1000, 0x8005100A
.long 0x924A02FF, 0x00000100
	;; [unrolled: 1-line block ×3, first 2 shown]
.long 0x24161682
.long 0xD9FE0000, 0x1400000B
.long 0xE05C1000, 0x8010180C
.long 0x8E4A8226
.long 0x80144A14
.long 0x82158015
.long 0xE05C1000, 0x8005200A
.long 0x8E4A8226
.long 0x80144A14
.long 0x82158015
	;; [unrolled: 4-line block ×3, first 2 shown]
.long 0xE05C1000, 0x8005300A
.long 0xD3D8401C, 0x18000140
	;; [unrolled: 1-line block ×17, first 2 shown]
.long 0xBF800001
.long 0x0A38382C
	;; [unrolled: 1-line block ×18, first 2 shown]
.long 0xD0CC0034, 0x00010042
.long 0xD1000018, 0x00D230F2
.long 0xD1000019, 0x00D232F2
.long 0xD3B1401C, 0x18023918
.long 0xD0CC0034, 0x00010042
.long 0xD100001A, 0x00D234F2
.long 0xD100001B, 0x00D236F2
.long 0xD3B1401E, 0x18023D1A
.long 0xD13B001C, 0x00005B10
.long 0xD13B001D, 0x00005B11
.long 0xD13B001E, 0x00005B12
.long 0xD13B001F, 0x00005B13
.long 0xD3B24004, 0x18023914
.long 0xD3B24006, 0x18023D16
.long 0xBEC81E3E
.long 0x7E380304
.long 0x7E3A0305
.long 0x7E3C0306
.long 0x7E3E0307
.long 0x924AB424
.long 0x80104A10
.long 0x82118011
.long 0xE07C1000, 0x80041C09
.long 0xBF8C0F73
.long 0xD0CC0034, 0x00010042
.long 0xD1000018, 0x00D230F2
.long 0xD1000019, 0x00D232F2
.long 0xD3B14024, 0x18024918
.long 0xD0CC0034, 0x00010042
.long 0xD100001A, 0x00D234F2
.long 0xD100001B, 0x00D236F2
.long 0xD3B14026, 0x18024D1A
.long 0xD13B0024, 0x00005B20
.long 0xD13B0025, 0x00005B21
.long 0xD13B0026, 0x00005B22
.long 0xD13B0027, 0x00005B23
.long 0xD3B24004, 0x18024914
.long 0xD3B24006, 0x18024D16
.long 0xBEC81E3E
.long 0x7E480304
.long 0x7E4A0305
.long 0x7E4C0306
.long 0x7E4E0307
.long 0x8E4A8224
.long 0x80104A10
.long 0x82118011
.long 0xE07C1000, 0x80042409
.long 0xBF8C0F73
	;; [unrolled: 24-line block ×4, first 2 shown]
.long 0x924AB426
.long 0x80144A14
	;; [unrolled: 1-line block ×3, first 2 shown]
.long 0xE05C1000, 0x8005100A
.long 0x924A02FF, 0x00000100
.long 0xD135000B, 0x00009500
.long 0x24161682
.long 0xD9FE0000, 0x1400000B
.long 0xE05C1000, 0x8010180C
.long 0x8E4A8226
.long 0x80144A14
.long 0x82158015
.long 0xE05C1000, 0x8005200A
.long 0x8E4A8226
.long 0x80144A14
.long 0x82158015
	;; [unrolled: 4-line block ×3, first 2 shown]
.long 0xE05C1000, 0x8005300A
.long 0xD3D8401C, 0x18000150
	;; [unrolled: 1-line block ×17, first 2 shown]
.long 0xBF800001
.long 0x0A38382C
	;; [unrolled: 1-line block ×18, first 2 shown]
.long 0xD0CC0034, 0x00010042
.long 0xD1000018, 0x00D230F2
.long 0xD1000019, 0x00D232F2
.long 0xD3B1401C, 0x18023918
.long 0xD0CC0034, 0x00010042
.long 0xD100001A, 0x00D234F2
.long 0xD100001B, 0x00D236F2
.long 0xD3B1401E, 0x18023D1A
.long 0xD13B001C, 0x00005B10
.long 0xD13B001D, 0x00005B11
.long 0xD13B001E, 0x00005B12
.long 0xD13B001F, 0x00005B13
.long 0xD3B24004, 0x18023914
.long 0xD3B24006, 0x18023D16
.long 0xBEC81E3E
.long 0x7E380304
.long 0x7E3A0305
.long 0x7E3C0306
.long 0x7E3E0307
.long 0x924AB424
.long 0x80104A10
.long 0x82118011
.long 0xE07C1000, 0x80041C09
.long 0xBF8C0F73
.long 0xD0CC0034, 0x00010042
.long 0xD1000018, 0x00D230F2
.long 0xD1000019, 0x00D232F2
.long 0xD3B14024, 0x18024918
.long 0xD0CC0034, 0x00010042
.long 0xD100001A, 0x00D234F2
.long 0xD100001B, 0x00D236F2
.long 0xD3B14026, 0x18024D1A
.long 0xD13B0024, 0x00005B20
.long 0xD13B0025, 0x00005B21
.long 0xD13B0026, 0x00005B22
.long 0xD13B0027, 0x00005B23
.long 0xD3B24004, 0x18024914
.long 0xD3B24006, 0x18024D16
.long 0xBEC81E3E
.long 0x7E480304
.long 0x7E4A0305
.long 0x7E4C0306
.long 0x7E4E0307
.long 0x8E4A8224
.long 0x80104A10
.long 0x82118011
.long 0xE07C1000, 0x80042409
.long 0xBF8C0F73
	;; [unrolled: 24-line block ×4, first 2 shown]
.long 0x924AB426
.long 0x80144A14
	;; [unrolled: 1-line block ×3, first 2 shown]
.long 0xE05C1000, 0x8005100A
.long 0x924A02FF, 0x00000100
	;; [unrolled: 1-line block ×3, first 2 shown]
.long 0x24161682
.long 0xD9FE0000, 0x1400000B
.long 0xE05C1000, 0x8010180C
.long 0x8E4A8226
.long 0x80144A14
.long 0x82158015
.long 0xE05C1000, 0x8005200A
.long 0x8E4A8226
.long 0x80144A14
.long 0x82158015
	;; [unrolled: 4-line block ×3, first 2 shown]
.long 0xE05C1000, 0x8005300A
.long 0xD3D8401C, 0x18000160
	;; [unrolled: 1-line block ×17, first 2 shown]
.long 0xBF800001
.long 0x0A38382C
.long 0x0A3A3A2C
.long 0x0A3C3C2C
.long 0x0A3E3E2C
.long 0x0A48482C
.long 0x0A4A4A2C
.long 0x0A4C4C2C
.long 0x0A4E4E2C
.long 0x0A58582C
.long 0x0A5A5A2C
.long 0x0A5C5C2C
.long 0x0A5E5E2C
.long 0x0A68682C
.long 0x0A6A6A2C
.long 0x0A6C6C2C
.long 0x0A6E6E2C
.long 0xBF8C0073
.long 0xD0CC0034, 0x00010042
.long 0xD1000018, 0x00D230F2
.long 0xD1000019, 0x00D232F2
.long 0xD3B1401C, 0x18023918
.long 0xD0CC0034, 0x00010042
.long 0xD100001A, 0x00D234F2
.long 0xD100001B, 0x00D236F2
.long 0xD3B1401E, 0x18023D1A
.long 0xD13B001C, 0x00005B10
.long 0xD13B001D, 0x00005B11
.long 0xD13B001E, 0x00005B12
.long 0xD13B001F, 0x00005B13
.long 0xD3B24004, 0x18023914
.long 0xD3B24006, 0x18023D16
.long 0xBEC81E3E
.long 0x7E380304
.long 0x7E3A0305
.long 0x7E3C0306
.long 0x7E3E0307
.long 0x924AB424
.long 0x80104A10
.long 0x82118011
.long 0xE07C1000, 0x80041C09
.long 0xBF8C0F73
.long 0xD0CC0034, 0x00010042
.long 0xD1000018, 0x00D230F2
.long 0xD1000019, 0x00D232F2
.long 0xD3B14024, 0x18024918
.long 0xD0CC0034, 0x00010042
.long 0xD100001A, 0x00D234F2
.long 0xD100001B, 0x00D236F2
.long 0xD3B14026, 0x18024D1A
.long 0xD13B0024, 0x00005B20
.long 0xD13B0025, 0x00005B21
.long 0xD13B0026, 0x00005B22
.long 0xD13B0027, 0x00005B23
.long 0xD3B24004, 0x18024914
.long 0xD3B24006, 0x18024D16
.long 0xBEC81E3E
.long 0x7E480304
.long 0x7E4A0305
.long 0x7E4C0306
.long 0x7E4E0307
.long 0x8E4A8224
.long 0x80104A10
.long 0x82118011
.long 0xE07C1000, 0x80042409
.long 0xBF8C0F73
	;; [unrolled: 24-line block ×4, first 2 shown]
.long 0x924AB426
.long 0x80144A14
	;; [unrolled: 1-line block ×3, first 2 shown]
.long 0xE05C1000, 0x8005100A
.long 0x924A02FF, 0x00000100
	;; [unrolled: 1-line block ×3, first 2 shown]
.long 0x24161682
.long 0xD9FE0000, 0x1400000B
.long 0xE05C1000, 0x8010180C
.long 0x8E4A8226
.long 0x80144A14
.long 0x82158015
.long 0xE05C1000, 0x8005200A
.long 0x8E4A8226
.long 0x80144A14
.long 0x82158015
	;; [unrolled: 4-line block ×3, first 2 shown]
.long 0xE05C1000, 0x8005300A
.long 0xD3D8401C, 0x18000170
	;; [unrolled: 1-line block ×17, first 2 shown]
.long 0xBF800001
.long 0x0A38382C
	;; [unrolled: 1-line block ×18, first 2 shown]
.long 0xD0CC0034, 0x00010042
.long 0xD1000018, 0x00D230F2
.long 0xD1000019, 0x00D232F2
.long 0xD3B1401C, 0x18023918
.long 0xD0CC0034, 0x00010042
.long 0xD100001A, 0x00D234F2
.long 0xD100001B, 0x00D236F2
.long 0xD3B1401E, 0x18023D1A
.long 0xD13B001C, 0x00005B10
.long 0xD13B001D, 0x00005B11
.long 0xD13B001E, 0x00005B12
.long 0xD13B001F, 0x00005B13
.long 0xD3B24004, 0x18023914
.long 0xD3B24006, 0x18023D16
.long 0xBEC81E3E
.long 0x7E380304
.long 0x7E3A0305
.long 0x7E3C0306
.long 0x7E3E0307
.long 0x924AB424
.long 0x80104A10
.long 0x82118011
.long 0xE07C1000, 0x80041C09
.long 0xBF8C0F73
.long 0xD0CC0034, 0x00010042
.long 0xD1000018, 0x00D230F2
.long 0xD1000019, 0x00D232F2
.long 0xD3B14024, 0x18024918
.long 0xD0CC0034, 0x00010042
.long 0xD100001A, 0x00D234F2
.long 0xD100001B, 0x00D236F2
.long 0xD3B14026, 0x18024D1A
.long 0xD13B0024, 0x00005B20
.long 0xD13B0025, 0x00005B21
.long 0xD13B0026, 0x00005B22
.long 0xD13B0027, 0x00005B23
.long 0xD3B24004, 0x18024914
.long 0xD3B24006, 0x18024D16
.long 0xBEC81E3E
.long 0x7E480304
.long 0x7E4A0305
.long 0x7E4C0306
.long 0x7E4E0307
.long 0x8E4A8224
.long 0x80104A10
.long 0x82118011
.long 0xE07C1000, 0x80042409
.long 0xBF8C0F73
	;; [unrolled: 24-line block ×4, first 2 shown]
.long 0x924AB426
.long 0x80144A14
	;; [unrolled: 1-line block ×3, first 2 shown]
.long 0xE05C1000, 0x8005100A
.long 0x924A02FF, 0x00000100
	;; [unrolled: 1-line block ×3, first 2 shown]
.long 0x24161682
.long 0xD9FE0000, 0x1400000B
.long 0xE05C1000, 0x8010180C
.long 0x8E4A8226
.long 0x80144A14
.long 0x82158015
.long 0xE05C1000, 0x8005200A
.long 0x8E4A8226
.long 0x80144A14
.long 0x82158015
	;; [unrolled: 4-line block ×4, first 2 shown]
.long 0x7E3E037C
.long 0x7E480371
	;; [unrolled: 1-line block ×31, first 2 shown]
.long 0xD0CC0034, 0x00010042
.long 0xD1000018, 0x00D230F2
.long 0xD1000019, 0x00D232F2
.long 0xD3B1401C, 0x18023918
.long 0xD0CC0034, 0x00010042
.long 0xD100001A, 0x00D234F2
.long 0xD100001B, 0x00D236F2
.long 0xD3B1401E, 0x18023D1A
.long 0xD13B001C, 0x00005B10
.long 0xD13B001D, 0x00005B11
.long 0xD13B001E, 0x00005B12
.long 0xD13B001F, 0x00005B13
.long 0xD3B24004, 0x18023914
.long 0xD3B24006, 0x18023D16
.long 0xBEC81E3E
.long 0x7E380304
.long 0x7E3A0305
.long 0x7E3C0306
.long 0x7E3E0307
.long 0x924AB424
.long 0x80104A10
.long 0x82118011
.long 0xE07C1000, 0x80041C09
.long 0xBF8C0F73
.long 0xD0CC0034, 0x00010042
.long 0xD1000018, 0x00D230F2
.long 0xD1000019, 0x00D232F2
.long 0xD3B14024, 0x18024918
.long 0xD0CC0034, 0x00010042
.long 0xD100001A, 0x00D234F2
.long 0xD100001B, 0x00D236F2
.long 0xD3B14026, 0x18024D1A
.long 0xD13B0024, 0x00005B20
.long 0xD13B0025, 0x00005B21
.long 0xD13B0026, 0x00005B22
.long 0xD13B0027, 0x00005B23
.long 0xD3B24004, 0x18024914
.long 0xD3B24006, 0x18024D16
.long 0xBEC81E3E
.long 0x7E480304
.long 0x7E4A0305
.long 0x7E4C0306
.long 0x7E4E0307
.long 0x8E4A8224
.long 0x80104A10
.long 0x82118011
.long 0xE07C1000, 0x80042409
.long 0xBF8C0F73
.long 0xD0CC0034, 0x00010042
.long 0xD1000018, 0x00D230F2
.long 0xD1000019, 0x00D232F2
.long 0xD3B1402C, 0x18025918
.long 0xD0CC0034, 0x00010042
.long 0xD100001A, 0x00D234F2
.long 0xD100001B, 0x00D236F2
.long 0xD3B1402E, 0x18025D1A
.long 0xD13B002C, 0x00005B28
.long 0xD13B002D, 0x00005B29
.long 0xD13B002E, 0x00005B2A
.long 0xD13B002F, 0x00005B2B
.long 0xD3B24004, 0x18025914
.long 0xD3B24006, 0x18025D16
.long 0xBEC81E3E
.long 0x7E580304
.long 0x7E5A0305
.long 0x7E5C0306
.long 0x7E5E0307
.long 0x8E4A8224
.long 0x80104A10
.long 0x82118011
.long 0xE07C1000, 0x80042C09
.long 0xBF8C0F73
.long 0xD0CC0034, 0x00010042
.long 0xD1000018, 0x00D230F2
.long 0xD1000019, 0x00D232F2
.long 0xD3B14034, 0x18026918
.long 0xD0CC0034, 0x00010042
.long 0xD100001A, 0x00D234F2
.long 0xD100001B, 0x00D236F2
.long 0xD3B14036, 0x18026D1A
.long 0xD13B0034, 0x00005B30
.long 0xD13B0035, 0x00005B31
.long 0xD13B0036, 0x00005B32
.long 0xD13B0037, 0x00005B33
.long 0xD3B24004, 0x18026914
.long 0xD3B24006, 0x18026D16
.long 0xBEC81E3E
.long 0x7E680304
.long 0x7E6A0305
.long 0x7E6C0306
.long 0x7E6E0307
.long 0x8E4A8224
.long 0x80104A10
.long 0x82118011
.long 0xE07C1000, 0x80043409
.long 0xBF800000
.long 0xBF820C03
.long 0x7E6A02FF, 0x80000000
.long 0xD0C9004A, 0x00003100
	;; [unrolled: 1-line block ×3, first 2 shown]
.long 0x86CE4E4A
.long 0xD1FE0009, 0x020A0102
.long 0xD1000009, 0x013A1335
	;; [unrolled: 1-line block ×5, first 2 shown]
.long 0x24141482
.long 0xD100000A, 0x013A1535
.long 0xBF8CC07F
.long 0xBF8A0000
.long 0xD9FE0000, 0x1000000A
.long 0x24160082
.long 0xE05C1000, 0x8010140B
.long 0xD1FE0009, 0x020A0103
	;; [unrolled: 1-line block ×8, first 2 shown]
.long 0x86CE4E4A
.long 0xD1FE001C, 0x020A0102
.long 0xD100001C, 0x013A3935
.long 0xE05C1000, 0x8005201C
.long 0x924A02FF, 0x00000100
.long 0xD135001D, 0x00009500
.long 0x243A3A82
.long 0xD100001D, 0x013A3B35
.long 0x243C0082
.long 0xD1FE001C, 0x020A0103
.long 0xD100001C, 0x013A3935
.long 0xD1196A01, 0x00010301
.long 0xD1340002, 0x00004D02
.long 0xD1340003, 0x00004903
.long 0xD0C9004A, 0x00003100
.long 0xD0C9004E, 0x00003301
.long 0x86CE4E4A
.long 0xD1FE001F, 0x020A0102
.long 0xD100001F, 0x013A3F35
.long 0xE05C1000, 0x80052C1F
.long 0x924A02FF, 0x00000100
.long 0xD1350028, 0x00009500
.long 0x24505082
.long 0xD1000028, 0x013A5135
.long 0x24520082
.long 0xD1FE001F, 0x020A0103
.long 0xD100001F, 0x013A3F35
.long 0xD1196A01, 0x00010301
.long 0xD1340002, 0x00004D02
.long 0xD1340003, 0x00004903
.long 0xD0C9004A, 0x00003100
.long 0xD0C9004E, 0x00003301
	;; [unrolled: 16-line block ×3, first 2 shown]
.long 0xD3D84025, 0x18000105
.long 0xD3D84026, 0x18000109
	;; [unrolled: 1-line block ×11, first 2 shown]
.long 0xBF800001
.long 0x0A30302C
	;; [unrolled: 1-line block ×18, first 2 shown]
.long 0xD0CC0034, 0x00010042
.long 0xD1000014, 0x00D228F2
.long 0xD1000015, 0x00D22AF2
.long 0xD3B14018, 0x18023114
.long 0xD0CC0034, 0x00010042
.long 0xD1000016, 0x00D22CF2
.long 0xD1000017, 0x00D22EF2
.long 0xD3B1401A, 0x18023516
.long 0xD13B0018, 0x00005B0C
.long 0xD13B0019, 0x00005B0D
.long 0xD13B001A, 0x00005B0E
.long 0xD13B001B, 0x00005B0F
.long 0xD3B24004, 0x18023110
.long 0xD3B24006, 0x18023512
.long 0xBEC81E3E
.long 0x7E300304
.long 0x7E320305
.long 0x7E340306
.long 0x7E360307
.long 0xE07C1000, 0x80041809
.long 0xD0CC0034, 0x00010042
.long 0xD1000014, 0x00D228F2
.long 0xD1000015, 0x00D22AF2
.long 0xD3B14024, 0x18024914
.long 0xD0CC0034, 0x00010042
.long 0xD1000016, 0x00D22CF2
.long 0xD1000017, 0x00D22EF2
.long 0xD3B14026, 0x18024D16
.long 0xD13B0024, 0x00005B20
.long 0xD13B0025, 0x00005B21
.long 0xD13B0026, 0x00005B22
.long 0xD13B0027, 0x00005B23
.long 0xD3B24004, 0x18024910
.long 0xD3B24006, 0x18024D12
.long 0xBEC81E3E
.long 0x7E480304
.long 0x7E4A0305
.long 0x7E4C0306
.long 0x7E4E0307
.long 0xE07C1000, 0x8004241C
	;; [unrolled: 20-line block ×4, first 2 shown]
.long 0xBF800000
.long 0x7E6A02FF, 0x80000000
.long 0xD1196A01, 0x00011B01
.long 0x924A8D26
.long 0xD1340002, 0x00009502
.long 0x924A8D24
.long 0xD1340003, 0x00009503
.long 0xD0C9004A, 0x00003100
.long 0xD0C9004E, 0x00003301
.long 0x86CE4E4A
.long 0xD1FE0009, 0x020A0102
.long 0xD1000009, 0x013A1335
	;; [unrolled: 1-line block ×5, first 2 shown]
.long 0x24141482
.long 0xD100000A, 0x013A1535
.long 0xD9FE0000, 0x1000000A
.long 0x24160082
.long 0xE05C1000, 0x8010140B
.long 0xD1FE0009, 0x020A0103
	;; [unrolled: 1-line block ×8, first 2 shown]
.long 0x86CE4E4A
.long 0xD1FE001C, 0x020A0102
.long 0xD100001C, 0x013A3935
.long 0xE05C1000, 0x8005201C
.long 0x924A02FF, 0x00000100
.long 0xD135001D, 0x00009500
.long 0x243A3A82
.long 0xD100001D, 0x013A3B35
.long 0x243C0082
.long 0xD1FE001C, 0x020A0103
.long 0xD100001C, 0x013A3935
.long 0xD1196A01, 0x00010301
.long 0xD1340002, 0x00004D02
.long 0xD1340003, 0x00004903
.long 0xD0C9004A, 0x00003100
.long 0xD0C9004E, 0x00003301
.long 0x86CE4E4A
.long 0xD1FE001F, 0x020A0102
.long 0xD100001F, 0x013A3F35
.long 0xE05C1000, 0x80052C1F
.long 0x924A02FF, 0x00000100
.long 0xD1350028, 0x00009500
.long 0x24505082
.long 0xD1000028, 0x013A5135
.long 0x24520082
.long 0xD1FE001F, 0x020A0103
.long 0xD100001F, 0x013A3F35
.long 0xD1196A01, 0x00010301
.long 0xD1340002, 0x00004D02
.long 0xD1340003, 0x00004903
.long 0xD0C9004A, 0x00003100
.long 0xD0C9004E, 0x00003301
	;; [unrolled: 16-line block ×3, first 2 shown]
.long 0xD3D84025, 0x18000115
.long 0xD3D84026, 0x18000119
	;; [unrolled: 1-line block ×11, first 2 shown]
.long 0xBF800001
.long 0x0A30302C
	;; [unrolled: 1-line block ×18, first 2 shown]
.long 0xD0CC0034, 0x00010042
.long 0xD1000014, 0x00D228F2
.long 0xD1000015, 0x00D22AF2
.long 0xD3B14018, 0x18023114
.long 0xD0CC0034, 0x00010042
.long 0xD1000016, 0x00D22CF2
.long 0xD1000017, 0x00D22EF2
.long 0xD3B1401A, 0x18023516
.long 0xD13B0018, 0x00005B0C
.long 0xD13B0019, 0x00005B0D
.long 0xD13B001A, 0x00005B0E
.long 0xD13B001B, 0x00005B0F
.long 0xD3B24004, 0x18023110
.long 0xD3B24006, 0x18023512
.long 0xBEC81E3E
.long 0x7E300304
.long 0x7E320305
.long 0x7E340306
.long 0x7E360307
.long 0xE07C1000, 0x80041809
.long 0xD0CC0034, 0x00010042
.long 0xD1000014, 0x00D228F2
.long 0xD1000015, 0x00D22AF2
.long 0xD3B14024, 0x18024914
.long 0xD0CC0034, 0x00010042
.long 0xD1000016, 0x00D22CF2
.long 0xD1000017, 0x00D22EF2
.long 0xD3B14026, 0x18024D16
.long 0xD13B0024, 0x00005B20
.long 0xD13B0025, 0x00005B21
.long 0xD13B0026, 0x00005B22
.long 0xD13B0027, 0x00005B23
.long 0xD3B24004, 0x18024910
.long 0xD3B24006, 0x18024D12
.long 0xBEC81E3E
.long 0x7E480304
.long 0x7E4A0305
.long 0x7E4C0306
.long 0x7E4E0307
.long 0xE07C1000, 0x8004241C
.long 0xD0CC0034, 0x00010042
.long 0xD1000014, 0x00D228F2
.long 0xD1000015, 0x00D22AF2
.long 0xD3B14030, 0x18026114
.long 0xD0CC0034, 0x00010042
.long 0xD1000016, 0x00D22CF2
.long 0xD1000017, 0x00D22EF2
.long 0xD3B14032, 0x18026516
.long 0xD13B0030, 0x00005B2C
.long 0xD13B0031, 0x00005B2D
.long 0xD13B0032, 0x00005B2E
.long 0xD13B0033, 0x00005B2F
.long 0xD3B24004, 0x18026110
.long 0xD3B24006, 0x18026512
.long 0xBEC81E3E
.long 0x7E600304
.long 0x7E620305
.long 0x7E640306
.long 0x7E660307
.long 0xE07C1000, 0x8004301F
.long 0xD0CC0034, 0x00010042
.long 0xD1000014, 0x00D228F2
.long 0xD1000015, 0x00D22AF2
.long 0xD3B1403C, 0x18027914
.long 0xD0CC0034, 0x00010042
.long 0xD1000016, 0x00D22CF2
.long 0xD1000017, 0x00D22EF2
.long 0xD3B1403E, 0x18027D16
.long 0xD13B003C, 0x00005B38
.long 0xD13B003D, 0x00005B39
.long 0xD13B003E, 0x00005B3A
.long 0xD13B003F, 0x00005B3B
.long 0xD3B24004, 0x18027910
.long 0xD3B24006, 0x18027D12
.long 0xBEC81E3E
.long 0x7E780304
.long 0x7E7A0305
.long 0x7E7C0306
.long 0x7E7E0307
.long 0xE07C1000, 0x80043C2A
.long 0xBF800000
.long 0x7E6A02FF, 0x80000000
.long 0xD1196A01, 0x00011B01
.long 0x924A8D26
.long 0xD1340002, 0x00009502
.long 0x924A8D24
.long 0xD1340003, 0x00009503
.long 0xD0C9004A, 0x00003100
	;; [unrolled: 1-line block ×3, first 2 shown]
.long 0x86CE4E4A
.long 0xD1FE0009, 0x020A0102
.long 0xD1000009, 0x013A1335
	;; [unrolled: 1-line block ×5, first 2 shown]
.long 0x24141482
.long 0xD100000A, 0x013A1535
.long 0xD9FE0000, 0x1000000A
.long 0x24160082
.long 0xE05C1000, 0x8010140B
.long 0xD1FE0009, 0x020A0103
	;; [unrolled: 1-line block ×8, first 2 shown]
.long 0x86CE4E4A
.long 0xD1FE001C, 0x020A0102
.long 0xD100001C, 0x013A3935
.long 0xE05C1000, 0x8005201C
.long 0x924A02FF, 0x00000100
.long 0xD135001D, 0x00009500
.long 0x243A3A82
.long 0xD100001D, 0x013A3B35
.long 0x243C0082
.long 0xD1FE001C, 0x020A0103
.long 0xD100001C, 0x013A3935
.long 0xD1196A01, 0x00010301
.long 0xD1340002, 0x00004D02
.long 0xD1340003, 0x00004903
.long 0xD0C9004A, 0x00003100
.long 0xD0C9004E, 0x00003301
.long 0x86CE4E4A
.long 0xD1FE001F, 0x020A0102
.long 0xD100001F, 0x013A3F35
.long 0xE05C1000, 0x80052C1F
.long 0x924A02FF, 0x00000100
.long 0xD1350028, 0x00009500
.long 0x24505082
.long 0xD1000028, 0x013A5135
.long 0x24520082
.long 0xD1FE001F, 0x020A0103
.long 0xD100001F, 0x013A3F35
.long 0xD1196A01, 0x00010301
.long 0xD1340002, 0x00004D02
.long 0xD1340003, 0x00004903
.long 0xD0C9004A, 0x00003100
.long 0xD0C9004E, 0x00003301
	;; [unrolled: 16-line block ×3, first 2 shown]
.long 0xD3D84025, 0x18000125
.long 0xD3D84026, 0x18000129
	;; [unrolled: 1-line block ×11, first 2 shown]
.long 0xBF800001
.long 0x0A30302C
	;; [unrolled: 1-line block ×18, first 2 shown]
.long 0xD0CC0034, 0x00010042
.long 0xD1000014, 0x00D228F2
.long 0xD1000015, 0x00D22AF2
.long 0xD3B14018, 0x18023114
.long 0xD0CC0034, 0x00010042
.long 0xD1000016, 0x00D22CF2
.long 0xD1000017, 0x00D22EF2
.long 0xD3B1401A, 0x18023516
.long 0xD13B0018, 0x00005B0C
.long 0xD13B0019, 0x00005B0D
.long 0xD13B001A, 0x00005B0E
.long 0xD13B001B, 0x00005B0F
.long 0xD3B24004, 0x18023110
.long 0xD3B24006, 0x18023512
.long 0xBEC81E3E
.long 0x7E300304
.long 0x7E320305
.long 0x7E340306
.long 0x7E360307
.long 0xE07C1000, 0x80041809
.long 0xD0CC0034, 0x00010042
.long 0xD1000014, 0x00D228F2
.long 0xD1000015, 0x00D22AF2
.long 0xD3B14024, 0x18024914
.long 0xD0CC0034, 0x00010042
.long 0xD1000016, 0x00D22CF2
.long 0xD1000017, 0x00D22EF2
.long 0xD3B14026, 0x18024D16
.long 0xD13B0024, 0x00005B20
.long 0xD13B0025, 0x00005B21
.long 0xD13B0026, 0x00005B22
.long 0xD13B0027, 0x00005B23
.long 0xD3B24004, 0x18024910
.long 0xD3B24006, 0x18024D12
.long 0xBEC81E3E
.long 0x7E480304
.long 0x7E4A0305
.long 0x7E4C0306
.long 0x7E4E0307
.long 0xE07C1000, 0x8004241C
	;; [unrolled: 20-line block ×4, first 2 shown]
.long 0xBF800000
.long 0x7E6A02FF, 0x80000000
.long 0xD1196A01, 0x00011B01
.long 0x924A8D26
.long 0xD1340002, 0x00009502
.long 0x924A8D24
.long 0xD1340003, 0x00009503
.long 0xD0C9004A, 0x00003100
	;; [unrolled: 1-line block ×3, first 2 shown]
.long 0x86CE4E4A
.long 0xD1FE0009, 0x020A0102
.long 0xD1000009, 0x013A1335
	;; [unrolled: 1-line block ×5, first 2 shown]
.long 0x24141482
.long 0xD100000A, 0x013A1535
.long 0xD9FE0000, 0x1000000A
.long 0x24160082
.long 0xE05C1000, 0x8010140B
.long 0xD1FE0009, 0x020A0103
	;; [unrolled: 1-line block ×8, first 2 shown]
.long 0x86CE4E4A
.long 0xD1FE001C, 0x020A0102
.long 0xD100001C, 0x013A3935
.long 0xE05C1000, 0x8005201C
.long 0x924A02FF, 0x00000100
.long 0xD135001D, 0x00009500
.long 0x243A3A82
.long 0xD100001D, 0x013A3B35
.long 0x243C0082
.long 0xD1FE001C, 0x020A0103
.long 0xD100001C, 0x013A3935
.long 0xD1196A01, 0x00010301
.long 0xD1340002, 0x00004D02
.long 0xD1340003, 0x00004903
.long 0xD0C9004A, 0x00003100
.long 0xD0C9004E, 0x00003301
.long 0x86CE4E4A
.long 0xD1FE001F, 0x020A0102
.long 0xD100001F, 0x013A3F35
.long 0xE05C1000, 0x80052C1F
.long 0x924A02FF, 0x00000100
.long 0xD1350028, 0x00009500
.long 0x24505082
.long 0xD1000028, 0x013A5135
.long 0x24520082
.long 0xD1FE001F, 0x020A0103
.long 0xD100001F, 0x013A3F35
.long 0xD1196A01, 0x00010301
.long 0xD1340002, 0x00004D02
.long 0xD1340003, 0x00004903
.long 0xD0C9004A, 0x00003100
.long 0xD0C9004E, 0x00003301
	;; [unrolled: 16-line block ×3, first 2 shown]
.long 0xD3D84025, 0x18000135
.long 0xD3D84026, 0x18000139
	;; [unrolled: 1-line block ×11, first 2 shown]
.long 0xBF800001
.long 0x0A30302C
	;; [unrolled: 1-line block ×18, first 2 shown]
.long 0xD0CC0034, 0x00010042
.long 0xD1000014, 0x00D228F2
.long 0xD1000015, 0x00D22AF2
.long 0xD3B14018, 0x18023114
.long 0xD0CC0034, 0x00010042
.long 0xD1000016, 0x00D22CF2
.long 0xD1000017, 0x00D22EF2
.long 0xD3B1401A, 0x18023516
.long 0xD13B0018, 0x00005B0C
.long 0xD13B0019, 0x00005B0D
.long 0xD13B001A, 0x00005B0E
.long 0xD13B001B, 0x00005B0F
.long 0xD3B24004, 0x18023110
.long 0xD3B24006, 0x18023512
.long 0xBEC81E3E
.long 0x7E300304
.long 0x7E320305
.long 0x7E340306
.long 0x7E360307
.long 0xE07C1000, 0x80041809
.long 0xD0CC0034, 0x00010042
.long 0xD1000014, 0x00D228F2
.long 0xD1000015, 0x00D22AF2
.long 0xD3B14024, 0x18024914
.long 0xD0CC0034, 0x00010042
.long 0xD1000016, 0x00D22CF2
.long 0xD1000017, 0x00D22EF2
.long 0xD3B14026, 0x18024D16
.long 0xD13B0024, 0x00005B20
.long 0xD13B0025, 0x00005B21
.long 0xD13B0026, 0x00005B22
.long 0xD13B0027, 0x00005B23
.long 0xD3B24004, 0x18024910
.long 0xD3B24006, 0x18024D12
.long 0xBEC81E3E
.long 0x7E480304
.long 0x7E4A0305
.long 0x7E4C0306
.long 0x7E4E0307
.long 0xE07C1000, 0x8004241C
	;; [unrolled: 20-line block ×4, first 2 shown]
.long 0xBF800000
.long 0x7E6A02FF, 0x80000000
.long 0xD1196A01, 0x00011B01
.long 0x924A8D26
.long 0xD1340002, 0x00009502
.long 0x924A8D24
.long 0xD1340003, 0x00009503
.long 0xD0C9004A, 0x00003100
	;; [unrolled: 1-line block ×3, first 2 shown]
.long 0x86CE4E4A
.long 0xD1FE0009, 0x020A0102
.long 0xD1000009, 0x013A1335
	;; [unrolled: 1-line block ×5, first 2 shown]
.long 0x24141482
.long 0xD100000A, 0x013A1535
.long 0xD9FE0000, 0x1000000A
.long 0x24160082
.long 0xE05C1000, 0x8010140B
.long 0xD1FE0009, 0x020A0103
	;; [unrolled: 1-line block ×8, first 2 shown]
.long 0x86CE4E4A
.long 0xD1FE001C, 0x020A0102
.long 0xD100001C, 0x013A3935
.long 0xE05C1000, 0x8005201C
.long 0x924A02FF, 0x00000100
.long 0xD135001D, 0x00009500
.long 0x243A3A82
.long 0xD100001D, 0x013A3B35
.long 0x243C0082
.long 0xD1FE001C, 0x020A0103
.long 0xD100001C, 0x013A3935
.long 0xD1196A01, 0x00010301
.long 0xD1340002, 0x00004D02
.long 0xD1340003, 0x00004903
.long 0xD0C9004A, 0x00003100
.long 0xD0C9004E, 0x00003301
.long 0x86CE4E4A
.long 0xD1FE001F, 0x020A0102
.long 0xD100001F, 0x013A3F35
.long 0xE05C1000, 0x80052C1F
.long 0x924A02FF, 0x00000100
.long 0xD1350028, 0x00009500
.long 0x24505082
.long 0xD1000028, 0x013A5135
.long 0x24520082
.long 0xD1FE001F, 0x020A0103
.long 0xD100001F, 0x013A3F35
.long 0xD1196A01, 0x00010301
.long 0xD1340002, 0x00004D02
.long 0xD1340003, 0x00004903
.long 0xD0C9004A, 0x00003100
.long 0xD0C9004E, 0x00003301
	;; [unrolled: 16-line block ×3, first 2 shown]
.long 0xD3D84025, 0x18000145
.long 0xD3D84026, 0x18000149
	;; [unrolled: 1-line block ×11, first 2 shown]
.long 0xBF800001
.long 0x0A30302C
	;; [unrolled: 1-line block ×18, first 2 shown]
.long 0xD0CC0034, 0x00010042
.long 0xD1000014, 0x00D228F2
.long 0xD1000015, 0x00D22AF2
.long 0xD3B14018, 0x18023114
.long 0xD0CC0034, 0x00010042
.long 0xD1000016, 0x00D22CF2
.long 0xD1000017, 0x00D22EF2
.long 0xD3B1401A, 0x18023516
.long 0xD13B0018, 0x00005B0C
.long 0xD13B0019, 0x00005B0D
.long 0xD13B001A, 0x00005B0E
.long 0xD13B001B, 0x00005B0F
.long 0xD3B24004, 0x18023110
.long 0xD3B24006, 0x18023512
.long 0xBEC81E3E
.long 0x7E300304
.long 0x7E320305
.long 0x7E340306
.long 0x7E360307
.long 0xE07C1000, 0x80041809
.long 0xD0CC0034, 0x00010042
.long 0xD1000014, 0x00D228F2
.long 0xD1000015, 0x00D22AF2
.long 0xD3B14024, 0x18024914
.long 0xD0CC0034, 0x00010042
.long 0xD1000016, 0x00D22CF2
.long 0xD1000017, 0x00D22EF2
.long 0xD3B14026, 0x18024D16
.long 0xD13B0024, 0x00005B20
.long 0xD13B0025, 0x00005B21
.long 0xD13B0026, 0x00005B22
.long 0xD13B0027, 0x00005B23
.long 0xD3B24004, 0x18024910
.long 0xD3B24006, 0x18024D12
.long 0xBEC81E3E
.long 0x7E480304
.long 0x7E4A0305
.long 0x7E4C0306
.long 0x7E4E0307
.long 0xE07C1000, 0x8004241C
	;; [unrolled: 20-line block ×4, first 2 shown]
.long 0xBF800000
.long 0x7E6A02FF, 0x80000000
.long 0xD1196A01, 0x00011B01
.long 0x924A8D26
.long 0xD1340002, 0x00009502
.long 0x924A8D24
.long 0xD1340003, 0x00009503
.long 0xD0C9004A, 0x00003100
	;; [unrolled: 1-line block ×3, first 2 shown]
.long 0x86CE4E4A
.long 0xD1FE0009, 0x020A0102
.long 0xD1000009, 0x013A1335
.long 0xE05C1000, 0x80050C09
.long 0x924A02FF, 0x00000100
.long 0xD135000A, 0x00009500
.long 0x24141482
.long 0xD100000A, 0x013A1535
.long 0xD9FE0000, 0x1000000A
.long 0x24160082
.long 0xE05C1000, 0x8010140B
.long 0xD1FE0009, 0x020A0103
	;; [unrolled: 1-line block ×8, first 2 shown]
.long 0x86CE4E4A
.long 0xD1FE001C, 0x020A0102
.long 0xD100001C, 0x013A3935
.long 0xE05C1000, 0x8005201C
.long 0x924A02FF, 0x00000100
.long 0xD135001D, 0x00009500
.long 0x243A3A82
.long 0xD100001D, 0x013A3B35
.long 0x243C0082
.long 0xD1FE001C, 0x020A0103
.long 0xD100001C, 0x013A3935
.long 0xD1196A01, 0x00010301
.long 0xD1340002, 0x00004D02
.long 0xD1340003, 0x00004903
.long 0xD0C9004A, 0x00003100
.long 0xD0C9004E, 0x00003301
.long 0x86CE4E4A
.long 0xD1FE001F, 0x020A0102
.long 0xD100001F, 0x013A3F35
.long 0xE05C1000, 0x80052C1F
.long 0x924A02FF, 0x00000100
.long 0xD1350028, 0x00009500
.long 0x24505082
.long 0xD1000028, 0x013A5135
.long 0x24520082
.long 0xD1FE001F, 0x020A0103
.long 0xD100001F, 0x013A3F35
.long 0xD1196A01, 0x00010301
.long 0xD1340002, 0x00004D02
.long 0xD1340003, 0x00004903
.long 0xD0C9004A, 0x00003100
.long 0xD0C9004E, 0x00003301
	;; [unrolled: 16-line block ×3, first 2 shown]
.long 0xD3D84025, 0x18000155
.long 0xD3D84026, 0x18000159
	;; [unrolled: 1-line block ×11, first 2 shown]
.long 0xBF800001
.long 0x0A30302C
	;; [unrolled: 1-line block ×18, first 2 shown]
.long 0xD0CC0034, 0x00010042
.long 0xD1000014, 0x00D228F2
.long 0xD1000015, 0x00D22AF2
.long 0xD3B14018, 0x18023114
.long 0xD0CC0034, 0x00010042
.long 0xD1000016, 0x00D22CF2
.long 0xD1000017, 0x00D22EF2
.long 0xD3B1401A, 0x18023516
.long 0xD13B0018, 0x00005B0C
.long 0xD13B0019, 0x00005B0D
.long 0xD13B001A, 0x00005B0E
.long 0xD13B001B, 0x00005B0F
.long 0xD3B24004, 0x18023110
.long 0xD3B24006, 0x18023512
.long 0xBEC81E3E
.long 0x7E300304
.long 0x7E320305
.long 0x7E340306
.long 0x7E360307
.long 0xE07C1000, 0x80041809
.long 0xD0CC0034, 0x00010042
.long 0xD1000014, 0x00D228F2
.long 0xD1000015, 0x00D22AF2
.long 0xD3B14024, 0x18024914
.long 0xD0CC0034, 0x00010042
.long 0xD1000016, 0x00D22CF2
.long 0xD1000017, 0x00D22EF2
.long 0xD3B14026, 0x18024D16
.long 0xD13B0024, 0x00005B20
.long 0xD13B0025, 0x00005B21
.long 0xD13B0026, 0x00005B22
.long 0xD13B0027, 0x00005B23
.long 0xD3B24004, 0x18024910
.long 0xD3B24006, 0x18024D12
.long 0xBEC81E3E
.long 0x7E480304
.long 0x7E4A0305
.long 0x7E4C0306
.long 0x7E4E0307
.long 0xE07C1000, 0x8004241C
	;; [unrolled: 20-line block ×4, first 2 shown]
.long 0xBF800000
.long 0x7E6A02FF, 0x80000000
.long 0xD1196A01, 0x00011B01
.long 0x924A8D26
.long 0xD1340002, 0x00009502
.long 0x924A8D24
.long 0xD1340003, 0x00009503
.long 0xD0C9004A, 0x00003100
	;; [unrolled: 1-line block ×3, first 2 shown]
.long 0x86CE4E4A
.long 0xD1FE0009, 0x020A0102
.long 0xD1000009, 0x013A1335
	;; [unrolled: 1-line block ×5, first 2 shown]
.long 0x24141482
.long 0xD100000A, 0x013A1535
.long 0xD9FE0000, 0x1000000A
.long 0x24160082
.long 0xE05C1000, 0x8010140B
.long 0xD1FE0009, 0x020A0103
	;; [unrolled: 1-line block ×8, first 2 shown]
.long 0x86CE4E4A
.long 0xD1FE001C, 0x020A0102
.long 0xD100001C, 0x013A3935
.long 0xE05C1000, 0x8005201C
.long 0x924A02FF, 0x00000100
.long 0xD135001D, 0x00009500
.long 0x243A3A82
.long 0xD100001D, 0x013A3B35
.long 0x243C0082
.long 0xD1FE001C, 0x020A0103
.long 0xD100001C, 0x013A3935
.long 0xD1196A01, 0x00010301
.long 0xD1340002, 0x00004D02
.long 0xD1340003, 0x00004903
.long 0xD0C9004A, 0x00003100
.long 0xD0C9004E, 0x00003301
.long 0x86CE4E4A
.long 0xD1FE001F, 0x020A0102
.long 0xD100001F, 0x013A3F35
.long 0xE05C1000, 0x80052C1F
.long 0x924A02FF, 0x00000100
.long 0xD1350028, 0x00009500
.long 0x24505082
.long 0xD1000028, 0x013A5135
.long 0x24520082
.long 0xD1FE001F, 0x020A0103
.long 0xD100001F, 0x013A3F35
.long 0xD1196A01, 0x00010301
.long 0xD1340002, 0x00004D02
.long 0xD1340003, 0x00004903
.long 0xD0C9004A, 0x00003100
.long 0xD0C9004E, 0x00003301
	;; [unrolled: 16-line block ×3, first 2 shown]
.long 0xD3D84025, 0x18000165
.long 0xD3D84026, 0x18000169
	;; [unrolled: 1-line block ×11, first 2 shown]
.long 0xBF800001
.long 0x0A30302C
	;; [unrolled: 1-line block ×18, first 2 shown]
.long 0xD0CC0034, 0x00010042
.long 0xD1000014, 0x00D228F2
.long 0xD1000015, 0x00D22AF2
.long 0xD3B14018, 0x18023114
.long 0xD0CC0034, 0x00010042
.long 0xD1000016, 0x00D22CF2
.long 0xD1000017, 0x00D22EF2
.long 0xD3B1401A, 0x18023516
.long 0xD13B0018, 0x00005B0C
.long 0xD13B0019, 0x00005B0D
.long 0xD13B001A, 0x00005B0E
.long 0xD13B001B, 0x00005B0F
.long 0xD3B24004, 0x18023110
.long 0xD3B24006, 0x18023512
.long 0xBEC81E3E
.long 0x7E300304
.long 0x7E320305
.long 0x7E340306
.long 0x7E360307
.long 0xE07C1000, 0x80041809
.long 0xD0CC0034, 0x00010042
.long 0xD1000014, 0x00D228F2
.long 0xD1000015, 0x00D22AF2
.long 0xD3B14024, 0x18024914
.long 0xD0CC0034, 0x00010042
.long 0xD1000016, 0x00D22CF2
.long 0xD1000017, 0x00D22EF2
.long 0xD3B14026, 0x18024D16
.long 0xD13B0024, 0x00005B20
.long 0xD13B0025, 0x00005B21
.long 0xD13B0026, 0x00005B22
.long 0xD13B0027, 0x00005B23
.long 0xD3B24004, 0x18024910
.long 0xD3B24006, 0x18024D12
.long 0xBEC81E3E
.long 0x7E480304
.long 0x7E4A0305
.long 0x7E4C0306
.long 0x7E4E0307
.long 0xE07C1000, 0x8004241C
	;; [unrolled: 20-line block ×4, first 2 shown]
.long 0xBF800000
.long 0x7E6A02FF, 0x80000000
.long 0xD1196A01, 0x00011B01
.long 0x924A8D26
.long 0xD1340002, 0x00009502
.long 0x924A8D24
.long 0xD1340003, 0x00009503
.long 0xD0C9004A, 0x00003100
	;; [unrolled: 1-line block ×3, first 2 shown]
.long 0x86CE4E4A
.long 0xD1FE0009, 0x020A0102
.long 0xD1000009, 0x013A1335
	;; [unrolled: 1-line block ×5, first 2 shown]
.long 0x24141482
.long 0xD100000A, 0x013A1535
.long 0xD9FE0000, 0x1000000A
.long 0x24160082
.long 0xE05C1000, 0x8010140B
.long 0xD1FE0009, 0x020A0103
	;; [unrolled: 1-line block ×8, first 2 shown]
.long 0x86CE4E4A
.long 0xD1FE001C, 0x020A0102
.long 0xD100001C, 0x013A3935
.long 0xE05C1000, 0x8005201C
.long 0x924A02FF, 0x00000100
.long 0xD135001D, 0x00009500
.long 0x243A3A82
.long 0xD100001D, 0x013A3B35
.long 0x243C0082
.long 0xD1FE001C, 0x020A0103
.long 0xD100001C, 0x013A3935
.long 0xD1196A01, 0x00010301
.long 0xD1340002, 0x00004D02
.long 0xD1340003, 0x00004903
.long 0xD0C9004A, 0x00003100
.long 0xD0C9004E, 0x00003301
.long 0x86CE4E4A
.long 0xD1FE001F, 0x020A0102
.long 0xD100001F, 0x013A3F35
.long 0xE05C1000, 0x80052C1F
.long 0x924A02FF, 0x00000100
.long 0xD1350028, 0x00009500
.long 0x24505082
.long 0xD1000028, 0x013A5135
.long 0x24520082
.long 0xD1FE001F, 0x020A0103
.long 0xD100001F, 0x013A3F35
.long 0xD1196A01, 0x00010301
.long 0xD1340002, 0x00004D02
.long 0xD1340003, 0x00004903
.long 0xD0C9004A, 0x00003100
.long 0xD0C9004E, 0x00003301
	;; [unrolled: 16-line block ×3, first 2 shown]
.long 0xD3D84025, 0x18000175
.long 0xD3D84026, 0x18000179
	;; [unrolled: 1-line block ×11, first 2 shown]
.long 0xBF800001
.long 0x0A30302C
	;; [unrolled: 1-line block ×18, first 2 shown]
.long 0xD0CC0034, 0x00010042
.long 0xD1000014, 0x00D228F2
.long 0xD1000015, 0x00D22AF2
.long 0xD3B14018, 0x18023114
.long 0xD0CC0034, 0x00010042
.long 0xD1000016, 0x00D22CF2
.long 0xD1000017, 0x00D22EF2
.long 0xD3B1401A, 0x18023516
.long 0xD13B0018, 0x00005B0C
.long 0xD13B0019, 0x00005B0D
.long 0xD13B001A, 0x00005B0E
.long 0xD13B001B, 0x00005B0F
.long 0xD3B24004, 0x18023110
.long 0xD3B24006, 0x18023512
.long 0xBEC81E3E
.long 0x7E300304
.long 0x7E320305
.long 0x7E340306
.long 0x7E360307
.long 0xE07C1000, 0x80041809
.long 0xD0CC0034, 0x00010042
.long 0xD1000014, 0x00D228F2
.long 0xD1000015, 0x00D22AF2
.long 0xD3B14024, 0x18024914
.long 0xD0CC0034, 0x00010042
.long 0xD1000016, 0x00D22CF2
.long 0xD1000017, 0x00D22EF2
.long 0xD3B14026, 0x18024D16
.long 0xD13B0024, 0x00005B20
.long 0xD13B0025, 0x00005B21
.long 0xD13B0026, 0x00005B22
.long 0xD13B0027, 0x00005B23
.long 0xD3B24004, 0x18024910
.long 0xD3B24006, 0x18024D12
.long 0xBEC81E3E
.long 0x7E480304
.long 0x7E4A0305
.long 0x7E4C0306
.long 0x7E4E0307
.long 0xE07C1000, 0x8004241C
	;; [unrolled: 20-line block ×4, first 2 shown]
.long 0xBF800000
.long 0x7E6A02FF, 0x80000000
.long 0xD1196A01, 0x00011B01
.long 0x924A8D26
.long 0xD1340002, 0x00009502
.long 0x924A8D24
.long 0xD1340003, 0x00009503
.long 0xD0C9004A, 0x00003100
.long 0xD0C9004E, 0x00003301
.long 0x86CE4E4A
.long 0xD1FE0009, 0x020A0102
.long 0xD1000009, 0x013A1335
	;; [unrolled: 1-line block ×5, first 2 shown]
.long 0x24141482
.long 0xD100000A, 0x013A1535
.long 0xD9FE0000, 0x1000000A
.long 0x24160082
.long 0xE05C1000, 0x8010140B
.long 0xD1FE0009, 0x020A0103
	;; [unrolled: 1-line block ×8, first 2 shown]
.long 0x86CE4E4A
.long 0xD1FE001C, 0x020A0102
.long 0xD100001C, 0x013A3935
	;; [unrolled: 1-line block ×5, first 2 shown]
.long 0x243A3A82
.long 0xD100001D, 0x013A3B35
.long 0x243C0082
.long 0xD1FE001C, 0x020A0103
.long 0xD100001C, 0x013A3935
	;; [unrolled: 1-line block ×7, first 2 shown]
.long 0x86CE4E4A
.long 0xD1FE001F, 0x020A0102
.long 0xD100001F, 0x013A3F35
.long 0xE05C1000, 0x80052C1F
.long 0x924A02FF, 0x00000100
.long 0xD1350028, 0x00009500
.long 0x24505082
.long 0xD1000028, 0x013A5135
.long 0x24520082
.long 0xD1FE001F, 0x020A0103
.long 0xD100001F, 0x013A3F35
	;; [unrolled: 1-line block ×7, first 2 shown]
.long 0x86CE4E4A
.long 0xD1FE002A, 0x020A0102
.long 0xD100002A, 0x013A5535
	;; [unrolled: 1-line block ×5, first 2 shown]
.long 0x24565682
.long 0xD100002B, 0x013A5735
.long 0x24680082
.long 0xD1FE002A, 0x020A0103
.long 0xD100002A, 0x013A5535
.long 0x7E300370
.long 0x7E320374
	;; [unrolled: 1-line block ×34, first 2 shown]
.long 0xD0CC0034, 0x00010042
.long 0xD1000014, 0x00D228F2
.long 0xD1000015, 0x00D22AF2
.long 0xD3B14018, 0x18023114
.long 0xD0CC0034, 0x00010042
.long 0xD1000016, 0x00D22CF2
.long 0xD1000017, 0x00D22EF2
.long 0xD3B1401A, 0x18023516
.long 0xD13B0018, 0x00005B0C
.long 0xD13B0019, 0x00005B0D
.long 0xD13B001A, 0x00005B0E
.long 0xD13B001B, 0x00005B0F
.long 0xD3B24004, 0x18023110
.long 0xD3B24006, 0x18023512
.long 0xBEC81E3E
.long 0x7E300304
.long 0x7E320305
.long 0x7E340306
.long 0x7E360307
.long 0xE07C1000, 0x80041809
.long 0xD0CC0034, 0x00010042
.long 0xD1000014, 0x00D228F2
.long 0xD1000015, 0x00D22AF2
.long 0xD3B14024, 0x18024914
.long 0xD0CC0034, 0x00010042
.long 0xD1000016, 0x00D22CF2
.long 0xD1000017, 0x00D22EF2
.long 0xD3B14026, 0x18024D16
.long 0xD13B0024, 0x00005B20
.long 0xD13B0025, 0x00005B21
.long 0xD13B0026, 0x00005B22
.long 0xD13B0027, 0x00005B23
.long 0xD3B24004, 0x18024910
.long 0xD3B24006, 0x18024D12
.long 0xBEC81E3E
.long 0x7E480304
.long 0x7E4A0305
.long 0x7E4C0306
.long 0x7E4E0307
.long 0xE07C1000, 0x8004241C
	;; [unrolled: 20-line block ×4, first 2 shown]
.long 0xBF800000
.long 0xBF820105
	;; [unrolled: 1-line block ×3, first 2 shown]
.long 0x260808FF, 0x7FFFFFFF
.long 0x260A0AFF, 0x7FFFFFFF
	;; [unrolled: 1-line block ×4, first 2 shown]
.long 0xBE801D48
.long 0xD044006A, 0x00007504
.long 0x1408083B
.long 0x00080880
.long 0xD044006A, 0x00007505
.long 0x140A0A3B
	;; [unrolled: 3-line block ×4, first 2 shown]
.long 0x000E0E80
.long 0xBE801D48
.long 0x0A1008FF, 0x3D372713
.long 0xD1CB0008, 0x03CA1104
.long 0x0A101104
.long 0x0A1010FF, 0x40135761
.long 0x7E104108
.long 0xBF800000
.long 0x021010F2
.long 0x7E104508
.long 0xBF800000
.long 0xD1CB0008, 0x03D210F5
.long 0x0A101104
.long 0x0A0810F0
.long 0x0A100AFF, 0x3D372713
.long 0xD1CB0008, 0x03CA1105
.long 0x0A101105
.long 0x0A1010FF, 0x40135761
.long 0x7E104108
.long 0xBF800000
.long 0x021010F2
.long 0x7E104508
.long 0xBF800000
.long 0xD1CB0008, 0x03D210F5
	;; [unrolled: 12-line block ×4, first 2 shown]
.long 0x0A101107
.long 0x0A0E10F0
	;; [unrolled: 1-line block ×4, first 2 shown]
.long 0xD046006A, 0x00010104
.long 0x00080908
.long 0x0A100A3A
.long 0xD046006A, 0x00010105
.long 0x000A0B08
.long 0x0A100C3A
	;; [unrolled: 3-line block ×4, first 2 shown]
.long 0xD10B0004, 0x00010104
.long 0xD10B0005, 0x00010105
	;; [unrolled: 1-line block ×4, first 2 shown]
.long 0xBE801D48
.long 0x0A0808FF, 0xBFB8AA3B
.long 0x7E084104
.long 0xBF800000
.long 0x020808F2
.long 0x7E084504
.long 0xBF800000
.long 0x0A0A0AFF, 0xBFB8AA3B
.long 0x7E0A4105
.long 0xBF800000
.long 0x020A0AF2
.long 0x7E0A4505
	;; [unrolled: 6-line block ×4, first 2 shown]
.long 0xBF800000
.long 0xBE801D48
	;; [unrolled: 1-line block ×3, first 2 shown]
.long 0x0A0808FF, 0x4038AA3B
.long 0x7E084104
.long 0xBF800000
.long 0x020808F2
.long 0x7E084504
.long 0xBF800000
.long 0xD1CB0004, 0x03CA08F5
.long 0x0A08083B
.long 0x0A0A0A3A
.long 0x0A0A0AFF, 0x4038AA3B
.long 0x7E0A4105
.long 0xBF800000
.long 0x020A0AF2
.long 0x7E0A4505
.long 0xBF800000
.long 0xD1CB0005, 0x03CA0AF5
.long 0x0A0A0A3B
.long 0x0A0C0C3A
	;; [unrolled: 9-line block ×4, first 2 shown]
.long 0x0A1008FF, 0x3D372713
.long 0xD1CB0008, 0x03CA1104
.long 0x0A101104
.long 0x0A1010FF, 0x40135761
.long 0x7E104108
.long 0xBF800000
.long 0x021010F2
.long 0x7E104508
.long 0xBF800000
.long 0xD1CB0008, 0x03D210F5
.long 0x0A101104
.long 0x0A1010F0
.long 0x0A08103A
.long 0x0A100AFF, 0x3D372713
.long 0xD1CB0008, 0x03CA1105
.long 0x0A101105
.long 0x0A1010FF, 0x40135761
.long 0x7E104108
.long 0xBF800000
.long 0x021010F2
.long 0x7E104508
.long 0xBF800000
.long 0xD1CB0008, 0x03D210F5
.long 0x0A101105
.long 0x0A1010F0
.long 0x0A0A103A
	;; [unrolled: 13-line block ×4, first 2 shown]
.long 0xBE801D48
.long 0xBF810000
